;; amdgpu-corpus repo=ROCm/rocFFT kind=compiled arch=gfx1201 opt=O3
	.text
	.amdgcn_target "amdgcn-amd-amdhsa--gfx1201"
	.amdhsa_code_object_version 6
	.protected	fft_rtc_fwd_len1764_factors_2_2_3_3_7_7_wgs_126_tpt_126_halfLds_sp_op_CI_CI_sbrr_dirReg ; -- Begin function fft_rtc_fwd_len1764_factors_2_2_3_3_7_7_wgs_126_tpt_126_halfLds_sp_op_CI_CI_sbrr_dirReg
	.globl	fft_rtc_fwd_len1764_factors_2_2_3_3_7_7_wgs_126_tpt_126_halfLds_sp_op_CI_CI_sbrr_dirReg
	.p2align	8
	.type	fft_rtc_fwd_len1764_factors_2_2_3_3_7_7_wgs_126_tpt_126_halfLds_sp_op_CI_CI_sbrr_dirReg,@function
fft_rtc_fwd_len1764_factors_2_2_3_3_7_7_wgs_126_tpt_126_halfLds_sp_op_CI_CI_sbrr_dirReg: ; @fft_rtc_fwd_len1764_factors_2_2_3_3_7_7_wgs_126_tpt_126_halfLds_sp_op_CI_CI_sbrr_dirReg
; %bb.0:
	s_clause 0x2
	s_load_b128 s[12:15], s[0:1], 0x18
	s_load_b128 s[8:11], s[0:1], 0x0
	;; [unrolled: 1-line block ×3, first 2 shown]
	v_mul_u32_u24_e32 v1, 0x209, v0
	v_mov_b32_e32 v7, 0
	v_mov_b32_e32 v5, 0
	;; [unrolled: 1-line block ×3, first 2 shown]
	s_wait_kmcnt 0x0
	s_load_b64 s[18:19], s[12:13], 0x0
	s_load_b64 s[16:17], s[14:15], 0x0
	v_lshrrev_b32_e32 v1, 16, v1
	v_cmp_lt_u64_e64 s2, s[10:11], 2
	s_delay_alu instid0(VALU_DEP_2) | instskip(NEXT) | instid1(VALU_DEP_2)
	v_dual_mov_b32 v10, v7 :: v_dual_add_nc_u32 v9, ttmp9, v1
	s_and_b32 vcc_lo, exec_lo, s2
	s_cbranch_vccnz .LBB0_8
; %bb.1:
	s_load_b64 s[2:3], s[0:1], 0x10
	v_mov_b32_e32 v5, 0
	v_mov_b32_e32 v6, 0
	s_delay_alu instid0(VALU_DEP_2)
	v_mov_b32_e32 v1, v5
	s_add_nc_u64 s[20:21], s[14:15], 8
	s_add_nc_u64 s[22:23], s[12:13], 8
	s_mov_b64 s[24:25], 1
	v_mov_b32_e32 v2, v6
	s_wait_kmcnt 0x0
	s_add_nc_u64 s[26:27], s[2:3], 8
	s_mov_b32 s3, 0
.LBB0_2:                                ; =>This Inner Loop Header: Depth=1
	s_load_b64 s[28:29], s[26:27], 0x0
                                        ; implicit-def: $vgpr3_vgpr4
	s_mov_b32 s2, exec_lo
	s_wait_kmcnt 0x0
	v_or_b32_e32 v8, s29, v10
	s_delay_alu instid0(VALU_DEP_1)
	v_cmpx_ne_u64_e32 0, v[7:8]
	s_wait_alu 0xfffe
	s_xor_b32 s30, exec_lo, s2
	s_cbranch_execz .LBB0_4
; %bb.3:                                ;   in Loop: Header=BB0_2 Depth=1
	s_cvt_f32_u32 s2, s28
	s_cvt_f32_u32 s31, s29
	s_sub_nc_u64 s[36:37], 0, s[28:29]
	s_wait_alu 0xfffe
	s_delay_alu instid0(SALU_CYCLE_1) | instskip(SKIP_1) | instid1(SALU_CYCLE_2)
	s_fmamk_f32 s2, s31, 0x4f800000, s2
	s_wait_alu 0xfffe
	v_s_rcp_f32 s2, s2
	s_delay_alu instid0(TRANS32_DEP_1) | instskip(SKIP_1) | instid1(SALU_CYCLE_2)
	s_mul_f32 s2, s2, 0x5f7ffffc
	s_wait_alu 0xfffe
	s_mul_f32 s31, s2, 0x2f800000
	s_wait_alu 0xfffe
	s_delay_alu instid0(SALU_CYCLE_2) | instskip(SKIP_1) | instid1(SALU_CYCLE_2)
	s_trunc_f32 s31, s31
	s_wait_alu 0xfffe
	s_fmamk_f32 s2, s31, 0xcf800000, s2
	s_cvt_u32_f32 s35, s31
	s_wait_alu 0xfffe
	s_delay_alu instid0(SALU_CYCLE_1) | instskip(SKIP_1) | instid1(SALU_CYCLE_2)
	s_cvt_u32_f32 s34, s2
	s_wait_alu 0xfffe
	s_mul_u64 s[38:39], s[36:37], s[34:35]
	s_wait_alu 0xfffe
	s_mul_hi_u32 s41, s34, s39
	s_mul_i32 s40, s34, s39
	s_mul_hi_u32 s2, s34, s38
	s_mul_i32 s33, s35, s38
	s_wait_alu 0xfffe
	s_add_nc_u64 s[40:41], s[2:3], s[40:41]
	s_mul_hi_u32 s31, s35, s38
	s_mul_hi_u32 s42, s35, s39
	s_add_co_u32 s2, s40, s33
	s_wait_alu 0xfffe
	s_add_co_ci_u32 s2, s41, s31
	s_mul_i32 s38, s35, s39
	s_add_co_ci_u32 s39, s42, 0
	s_wait_alu 0xfffe
	s_add_nc_u64 s[38:39], s[2:3], s[38:39]
	s_wait_alu 0xfffe
	v_add_co_u32 v3, s2, s34, s38
	s_delay_alu instid0(VALU_DEP_1) | instskip(SKIP_1) | instid1(VALU_DEP_1)
	s_cmp_lg_u32 s2, 0
	s_add_co_ci_u32 s35, s35, s39
	v_readfirstlane_b32 s34, v3
	s_wait_alu 0xfffe
	s_delay_alu instid0(VALU_DEP_1)
	s_mul_u64 s[36:37], s[36:37], s[34:35]
	s_wait_alu 0xfffe
	s_mul_hi_u32 s39, s34, s37
	s_mul_i32 s38, s34, s37
	s_mul_hi_u32 s2, s34, s36
	s_mul_i32 s33, s35, s36
	s_wait_alu 0xfffe
	s_add_nc_u64 s[38:39], s[2:3], s[38:39]
	s_mul_hi_u32 s31, s35, s36
	s_mul_hi_u32 s34, s35, s37
	s_wait_alu 0xfffe
	s_add_co_u32 s2, s38, s33
	s_add_co_ci_u32 s2, s39, s31
	s_mul_i32 s36, s35, s37
	s_add_co_ci_u32 s37, s34, 0
	s_wait_alu 0xfffe
	s_add_nc_u64 s[36:37], s[2:3], s[36:37]
	s_wait_alu 0xfffe
	v_add_co_u32 v8, s2, v3, s36
	s_delay_alu instid0(VALU_DEP_1) | instskip(SKIP_1) | instid1(VALU_DEP_1)
	s_cmp_lg_u32 s2, 0
	s_add_co_ci_u32 s2, s35, s37
	v_mul_hi_u32 v15, v9, v8
	s_wait_alu 0xfffe
	v_mad_co_u64_u32 v[3:4], null, v9, s2, 0
	v_mad_co_u64_u32 v[11:12], null, v10, v8, 0
	;; [unrolled: 1-line block ×3, first 2 shown]
	s_delay_alu instid0(VALU_DEP_3) | instskip(SKIP_1) | instid1(VALU_DEP_4)
	v_add_co_u32 v3, vcc_lo, v15, v3
	s_wait_alu 0xfffd
	v_add_co_ci_u32_e32 v4, vcc_lo, 0, v4, vcc_lo
	s_delay_alu instid0(VALU_DEP_2) | instskip(SKIP_1) | instid1(VALU_DEP_2)
	v_add_co_u32 v3, vcc_lo, v3, v11
	s_wait_alu 0xfffd
	v_add_co_ci_u32_e32 v3, vcc_lo, v4, v12, vcc_lo
	s_wait_alu 0xfffd
	v_add_co_ci_u32_e32 v4, vcc_lo, 0, v14, vcc_lo
	s_delay_alu instid0(VALU_DEP_2) | instskip(SKIP_1) | instid1(VALU_DEP_2)
	v_add_co_u32 v8, vcc_lo, v3, v13
	s_wait_alu 0xfffd
	v_add_co_ci_u32_e32 v11, vcc_lo, 0, v4, vcc_lo
	s_delay_alu instid0(VALU_DEP_2) | instskip(SKIP_1) | instid1(VALU_DEP_3)
	v_mul_lo_u32 v12, s29, v8
	v_mad_co_u64_u32 v[3:4], null, s28, v8, 0
	v_mul_lo_u32 v13, s28, v11
	s_delay_alu instid0(VALU_DEP_2) | instskip(NEXT) | instid1(VALU_DEP_2)
	v_sub_co_u32 v3, vcc_lo, v9, v3
	v_add3_u32 v4, v4, v13, v12
	s_delay_alu instid0(VALU_DEP_1) | instskip(SKIP_1) | instid1(VALU_DEP_1)
	v_sub_nc_u32_e32 v12, v10, v4
	s_wait_alu 0xfffd
	v_subrev_co_ci_u32_e64 v12, s2, s29, v12, vcc_lo
	v_add_co_u32 v13, s2, v8, 2
	s_wait_alu 0xf1ff
	v_add_co_ci_u32_e64 v14, s2, 0, v11, s2
	v_sub_co_u32 v15, s2, v3, s28
	v_sub_co_ci_u32_e32 v4, vcc_lo, v10, v4, vcc_lo
	s_wait_alu 0xf1ff
	v_subrev_co_ci_u32_e64 v12, s2, 0, v12, s2
	s_delay_alu instid0(VALU_DEP_3) | instskip(NEXT) | instid1(VALU_DEP_3)
	v_cmp_le_u32_e32 vcc_lo, s28, v15
	v_cmp_eq_u32_e64 s2, s29, v4
	s_wait_alu 0xfffd
	v_cndmask_b32_e64 v15, 0, -1, vcc_lo
	v_cmp_le_u32_e32 vcc_lo, s29, v12
	s_wait_alu 0xfffd
	v_cndmask_b32_e64 v16, 0, -1, vcc_lo
	v_cmp_le_u32_e32 vcc_lo, s28, v3
	;; [unrolled: 3-line block ×3, first 2 shown]
	s_wait_alu 0xfffd
	v_cndmask_b32_e64 v17, 0, -1, vcc_lo
	v_cmp_eq_u32_e32 vcc_lo, s29, v12
	s_wait_alu 0xf1ff
	s_delay_alu instid0(VALU_DEP_2)
	v_cndmask_b32_e64 v3, v17, v3, s2
	s_wait_alu 0xfffd
	v_cndmask_b32_e32 v12, v16, v15, vcc_lo
	v_add_co_u32 v15, vcc_lo, v8, 1
	s_wait_alu 0xfffd
	v_add_co_ci_u32_e32 v16, vcc_lo, 0, v11, vcc_lo
	s_delay_alu instid0(VALU_DEP_3) | instskip(SKIP_1) | instid1(VALU_DEP_2)
	v_cmp_ne_u32_e32 vcc_lo, 0, v12
	s_wait_alu 0xfffd
	v_cndmask_b32_e32 v4, v16, v14, vcc_lo
	v_cndmask_b32_e32 v12, v15, v13, vcc_lo
	v_cmp_ne_u32_e32 vcc_lo, 0, v3
	s_wait_alu 0xfffd
	s_delay_alu instid0(VALU_DEP_3) | instskip(NEXT) | instid1(VALU_DEP_3)
	v_cndmask_b32_e32 v4, v11, v4, vcc_lo
	v_cndmask_b32_e32 v3, v8, v12, vcc_lo
.LBB0_4:                                ;   in Loop: Header=BB0_2 Depth=1
	s_wait_alu 0xfffe
	s_and_not1_saveexec_b32 s2, s30
	s_cbranch_execz .LBB0_6
; %bb.5:                                ;   in Loop: Header=BB0_2 Depth=1
	v_cvt_f32_u32_e32 v3, s28
	s_sub_co_i32 s30, 0, s28
	s_delay_alu instid0(VALU_DEP_1) | instskip(NEXT) | instid1(TRANS32_DEP_1)
	v_rcp_iflag_f32_e32 v3, v3
	v_mul_f32_e32 v3, 0x4f7ffffe, v3
	s_delay_alu instid0(VALU_DEP_1) | instskip(SKIP_1) | instid1(VALU_DEP_1)
	v_cvt_u32_f32_e32 v3, v3
	s_wait_alu 0xfffe
	v_mul_lo_u32 v4, s30, v3
	s_delay_alu instid0(VALU_DEP_1) | instskip(NEXT) | instid1(VALU_DEP_1)
	v_mul_hi_u32 v4, v3, v4
	v_add_nc_u32_e32 v3, v3, v4
	s_delay_alu instid0(VALU_DEP_1) | instskip(NEXT) | instid1(VALU_DEP_1)
	v_mul_hi_u32 v3, v9, v3
	v_mul_lo_u32 v4, v3, s28
	v_add_nc_u32_e32 v8, 1, v3
	s_delay_alu instid0(VALU_DEP_2) | instskip(NEXT) | instid1(VALU_DEP_1)
	v_sub_nc_u32_e32 v4, v9, v4
	v_subrev_nc_u32_e32 v11, s28, v4
	v_cmp_le_u32_e32 vcc_lo, s28, v4
	s_wait_alu 0xfffd
	s_delay_alu instid0(VALU_DEP_2) | instskip(NEXT) | instid1(VALU_DEP_1)
	v_dual_cndmask_b32 v4, v4, v11 :: v_dual_cndmask_b32 v3, v3, v8
	v_cmp_le_u32_e32 vcc_lo, s28, v4
	s_delay_alu instid0(VALU_DEP_2) | instskip(SKIP_2) | instid1(VALU_DEP_2)
	v_add_nc_u32_e32 v8, 1, v3
	v_mov_b32_e32 v4, v7
	s_wait_alu 0xfffd
	v_cndmask_b32_e32 v3, v3, v8, vcc_lo
.LBB0_6:                                ;   in Loop: Header=BB0_2 Depth=1
	s_wait_alu 0xfffe
	s_or_b32 exec_lo, exec_lo, s2
	v_mul_lo_u32 v8, v4, s28
	s_delay_alu instid0(VALU_DEP_2)
	v_mul_lo_u32 v13, v3, s29
	s_load_b64 s[30:31], s[22:23], 0x0
	v_mad_co_u64_u32 v[11:12], null, v3, s28, 0
	s_load_b64 s[28:29], s[20:21], 0x0
	s_add_nc_u64 s[24:25], s[24:25], 1
	s_add_nc_u64 s[20:21], s[20:21], 8
	s_wait_alu 0xfffe
	v_cmp_ge_u64_e64 s2, s[24:25], s[10:11]
	s_add_nc_u64 s[22:23], s[22:23], 8
	s_add_nc_u64 s[26:27], s[26:27], 8
	v_add3_u32 v8, v12, v13, v8
	v_sub_co_u32 v9, vcc_lo, v9, v11
	s_wait_alu 0xfffd
	s_delay_alu instid0(VALU_DEP_2) | instskip(SKIP_2) | instid1(VALU_DEP_1)
	v_sub_co_ci_u32_e32 v8, vcc_lo, v10, v8, vcc_lo
	s_and_b32 vcc_lo, exec_lo, s2
	s_wait_kmcnt 0x0
	v_mul_lo_u32 v10, s30, v8
	v_mul_lo_u32 v11, s31, v9
	v_mad_co_u64_u32 v[5:6], null, s30, v9, v[5:6]
	v_mul_lo_u32 v8, s28, v8
	v_mul_lo_u32 v12, s29, v9
	v_mad_co_u64_u32 v[1:2], null, s28, v9, v[1:2]
	s_delay_alu instid0(VALU_DEP_4) | instskip(NEXT) | instid1(VALU_DEP_2)
	v_add3_u32 v6, v11, v6, v10
	v_add3_u32 v2, v12, v2, v8
	s_wait_alu 0xfffe
	s_cbranch_vccnz .LBB0_9
; %bb.7:                                ;   in Loop: Header=BB0_2 Depth=1
	v_dual_mov_b32 v10, v4 :: v_dual_mov_b32 v9, v3
	s_branch .LBB0_2
.LBB0_8:
	v_dual_mov_b32 v1, v5 :: v_dual_mov_b32 v2, v6
	s_delay_alu instid0(VALU_DEP_2)
	v_dual_mov_b32 v3, v9 :: v_dual_mov_b32 v4, v10
.LBB0_9:
	s_load_b64 s[0:1], s[0:1], 0x28
	v_mul_hi_u32 v11, 0x2082083, v0
	s_lshl_b64 s[10:11], s[10:11], 3
                                        ; implicit-def: $sgpr2_sgpr3
                                        ; implicit-def: $vgpr35
                                        ; implicit-def: $vgpr36
                                        ; implicit-def: $vgpr37
                                        ; implicit-def: $vgpr38
                                        ; implicit-def: $vgpr39
                                        ; implicit-def: $vgpr40
                                        ; implicit-def: $vgpr41
	s_wait_kmcnt 0x0
	v_cmp_gt_u64_e32 vcc_lo, s[0:1], v[3:4]
	v_cmp_le_u64_e64 s0, s[0:1], v[3:4]
	s_delay_alu instid0(VALU_DEP_1)
	s_and_saveexec_b32 s1, s0
	s_wait_alu 0xfffe
	s_xor_b32 s0, exec_lo, s1
; %bb.10:
	v_mul_u32_u24_e32 v5, 0x7e, v11
	s_mov_b64 s[2:3], 0
                                        ; implicit-def: $vgpr11
	s_delay_alu instid0(VALU_DEP_1) | instskip(NEXT) | instid1(VALU_DEP_1)
	v_sub_nc_u32_e32 v35, v0, v5
                                        ; implicit-def: $vgpr0
                                        ; implicit-def: $vgpr5_vgpr6
	v_add_nc_u32_e32 v36, 0x7e, v35
	v_add_nc_u32_e32 v37, 0xfc, v35
	v_add_nc_u32_e32 v38, 0x17a, v35
	v_add_nc_u32_e32 v39, 0x1f8, v35
	v_add_nc_u32_e32 v40, 0x276, v35
	v_add_nc_u32_e32 v41, 0x2f4, v35
; %bb.11:
	s_wait_alu 0xfffe
	s_or_saveexec_b32 s1, s0
	v_dual_mov_b32 v8, s3 :: v_dual_mov_b32 v7, s2
	v_dual_mov_b32 v10, s3 :: v_dual_mov_b32 v9, s2
	;; [unrolled: 1-line block ×7, first 2 shown]
	s_add_nc_u64 s[2:3], s[14:15], s[10:11]
                                        ; implicit-def: $vgpr12
                                        ; implicit-def: $vgpr20
                                        ; implicit-def: $vgpr34
                                        ; implicit-def: $vgpr32
                                        ; implicit-def: $vgpr30
                                        ; implicit-def: $vgpr22
                                        ; implicit-def: $vgpr14
	s_wait_alu 0xfffe
	s_xor_b32 exec_lo, exec_lo, s1
	s_cbranch_execz .LBB0_13
; %bb.12:
	s_add_nc_u64 s[10:11], s[12:13], s[10:11]
	v_mul_u32_u24_e32 v7, 0x7e, v11
	s_load_b64 s[10:11], s[10:11], 0x0
	v_lshlrev_b64_e32 v[5:6], 3, v[5:6]
	s_delay_alu instid0(VALU_DEP_2) | instskip(NEXT) | instid1(VALU_DEP_1)
	v_sub_nc_u32_e32 v35, v0, v7
	v_mad_co_u64_u32 v[7:8], null, s18, v35, 0
	v_add_nc_u32_e32 v18, 0x372, v35
	v_add_nc_u32_e32 v36, 0x7e, v35
	;; [unrolled: 1-line block ×5, first 2 shown]
	v_mad_co_u64_u32 v[9:10], null, s18, v18, 0
	v_mad_co_u64_u32 v[11:12], null, s18, v36, 0
	s_wait_kmcnt 0x0
	v_mul_lo_u32 v20, s11, v3
	v_mul_lo_u32 v22, s10, v4
	v_mad_co_u64_u32 v[13:14], null, s10, v3, 0
	v_dual_mov_b32 v0, v8 :: v_dual_add_nc_u32 v37, 0xfc, v35
	v_mov_b32_e32 v8, v12
	v_mad_co_u64_u32 v[24:25], null, s18, v26, 0
	s_delay_alu instid0(VALU_DEP_3) | instskip(SKIP_4) | instid1(VALU_DEP_4)
	v_mad_co_u64_u32 v[15:16], null, s19, v35, v[0:1]
	v_mov_b32_e32 v0, v10
	v_add3_u32 v14, v14, v22, v20
	v_mad_co_u64_u32 v[16:17], null, s18, v21, 0
	v_add_nc_u32_e32 v39, 0x1f8, v35
	v_mad_co_u64_u32 v[18:19], null, s19, v18, v[0:1]
	v_mad_co_u64_u32 v[19:20], null, s19, v36, v[8:9]
	v_lshlrev_b64_e32 v[13:14], 3, v[13:14]
	v_mov_b32_e32 v0, v17
	v_add_nc_u32_e32 v22, 0x46e, v35
	v_mov_b32_e32 v8, v15
	v_mov_b32_e32 v10, v18
	v_add_nc_u32_e32 v32, 0x56a, v35
	v_add_co_u32 v13, s0, s4, v13
	v_mov_b32_e32 v12, v19
	s_wait_alu 0xf1ff
	v_add_co_ci_u32_e64 v14, s0, s5, v14, s0
	s_delay_alu instid0(VALU_DEP_3) | instskip(SKIP_2) | instid1(VALU_DEP_3)
	v_add_co_u32 v34, s0, v13, v5
	v_mad_co_u64_u32 v[18:19], null, s18, v37, 0
	s_wait_alu 0xf1ff
	v_add_co_ci_u32_e64 v45, s0, v14, v6, s0
	v_lshlrev_b64_e32 v[5:6], 3, v[11:12]
	v_mad_co_u64_u32 v[11:12], null, s19, v21, v[0:1]
	v_mad_co_u64_u32 v[20:21], null, s18, v22, 0
	v_mov_b32_e32 v0, v19
	v_lshlrev_b64_e32 v[9:10], 3, v[9:10]
	v_add_nc_u32_e32 v40, 0x276, v35
	v_dual_mov_b32 v17, v11 :: v_dual_add_nc_u32 v42, 0x5e8, v35
	s_delay_alu instid0(VALU_DEP_4) | instskip(SKIP_1) | instid1(VALU_DEP_4)
	v_mad_co_u64_u32 v[14:15], null, s19, v37, v[0:1]
	v_mov_b32_e32 v11, v21
	v_mad_co_u64_u32 v[30:31], null, s18, v40, 0
	s_delay_alu instid0(VALU_DEP_4) | instskip(SKIP_2) | instid1(VALU_DEP_3)
	v_lshlrev_b64_e32 v[12:13], 3, v[16:17]
	v_add_nc_u32_e32 v41, 0x2f4, v35
	v_dual_mov_b32 v19, v14 :: v_dual_add_nc_u32 v44, 0x666, v35
	v_mad_co_u64_u32 v[15:16], null, s19, v22, v[11:12]
	v_mad_co_u64_u32 v[22:23], null, s18, v38, 0
	s_delay_alu instid0(VALU_DEP_2) | instskip(SKIP_1) | instid1(VALU_DEP_3)
	v_mov_b32_e32 v21, v15
	v_lshlrev_b64_e32 v[7:8], 3, v[7:8]
	v_mov_b32_e32 v0, v23
	s_delay_alu instid0(VALU_DEP_2) | instskip(SKIP_1) | instid1(VALU_DEP_3)
	v_add_co_u32 v7, s0, v34, v7
	s_wait_alu 0xf1ff
	v_add_co_ci_u32_e64 v8, s0, v45, v8, s0
	v_add_co_u32 v9, s0, v34, v9
	s_wait_alu 0xf1ff
	v_add_co_ci_u32_e64 v10, s0, v45, v10, s0
	;; [unrolled: 3-line block ×4, first 2 shown]
	s_clause 0x3
	global_load_b64 v[7:8], v[7:8], off
	global_load_b64 v[11:12], v[9:10], off
	;; [unrolled: 1-line block ×4, first 2 shown]
	v_lshlrev_b64_e32 v[5:6], 3, v[18:19]
	v_mad_co_u64_u32 v[18:19], null, s19, v38, v[0:1]
	v_mov_b32_e32 v17, v25
	v_lshlrev_b64_e32 v[15:16], 3, v[20:21]
	s_delay_alu instid0(VALU_DEP_4)
	v_add_co_u32 v5, s0, v34, v5
	s_wait_alu 0xf1ff
	v_add_co_ci_u32_e64 v6, s0, v45, v6, s0
	v_mad_co_u64_u32 v[19:20], null, s19, v26, v[17:18]
	v_mad_co_u64_u32 v[26:27], null, s18, v39, 0
	v_mov_b32_e32 v23, v18
	v_add_co_u32 v15, s0, v34, v15
	s_wait_alu 0xf1ff
	v_add_co_ci_u32_e64 v16, s0, v45, v16, s0
	v_mov_b32_e32 v25, v19
	v_lshlrev_b64_e32 v[17:18], 3, v[22:23]
	v_mov_b32_e32 v0, v27
	s_delay_alu instid0(VALU_DEP_3) | instskip(SKIP_1) | instid1(VALU_DEP_3)
	v_lshlrev_b64_e32 v[19:20], 3, v[24:25]
	v_mad_co_u64_u32 v[23:24], null, s18, v32, 0
	v_mad_co_u64_u32 v[21:22], null, s19, v39, v[0:1]
	v_add_co_u32 v28, s0, v34, v17
	s_wait_alu 0xf1ff
	v_add_co_ci_u32_e64 v29, s0, v45, v18, s0
	s_delay_alu instid0(VALU_DEP_4)
	v_mov_b32_e32 v0, v24
	v_add_co_u32 v19, s0, v34, v19
	v_mov_b32_e32 v27, v21
	s_wait_alu 0xf1ff
	v_add_co_ci_u32_e64 v20, s0, v45, v20, s0
	v_mad_co_u64_u32 v[24:25], null, s19, v32, v[0:1]
	v_mad_co_u64_u32 v[32:33], null, s18, v42, 0
	v_mov_b32_e32 v0, v31
	s_clause 0x3
	global_load_b64 v[17:18], v[5:6], off
	global_load_b64 v[21:22], v[15:16], off
	;; [unrolled: 1-line block ×4, first 2 shown]
	v_lshlrev_b64_e32 v[5:6], 3, v[26:27]
	v_lshlrev_b64_e32 v[23:24], 3, v[23:24]
	v_mad_co_u64_u32 v[25:26], null, s19, v40, v[0:1]
	v_mov_b32_e32 v0, v33
	v_mad_co_u64_u32 v[26:27], null, s18, v41, 0
	v_add_co_u32 v5, s0, v34, v5
	s_delay_alu instid0(VALU_DEP_3) | instskip(SKIP_1) | instid1(VALU_DEP_4)
	v_mad_co_u64_u32 v[28:29], null, s19, v42, v[0:1]
	v_mad_co_u64_u32 v[42:43], null, s18, v44, 0
	v_dual_mov_b32 v0, v27 :: v_dual_mov_b32 v31, v25
	s_wait_alu 0xf1ff
	v_add_co_ci_u32_e64 v6, s0, v45, v6, s0
	s_delay_alu instid0(VALU_DEP_4) | instskip(NEXT) | instid1(VALU_DEP_3)
	v_mov_b32_e32 v33, v28
	v_mad_co_u64_u32 v[27:28], null, s19, v41, v[0:1]
	v_mov_b32_e32 v0, v43
	v_lshlrev_b64_e32 v[28:29], 3, v[30:31]
	v_add_co_u32 v23, s0, v34, v23
	s_wait_alu 0xf1ff
	v_add_co_ci_u32_e64 v24, s0, v45, v24, s0
	v_mad_co_u64_u32 v[30:31], null, s19, v44, v[0:1]
	v_lshlrev_b64_e32 v[31:32], 3, v[32:33]
	v_add_co_u32 v28, s0, v34, v28
	s_wait_alu 0xf1ff
	v_add_co_ci_u32_e64 v29, s0, v45, v29, s0
	v_lshlrev_b64_e32 v[25:26], 3, v[26:27]
	v_mov_b32_e32 v43, v30
	v_add_co_u32 v30, s0, v34, v31
	s_wait_alu 0xf1ff
	v_add_co_ci_u32_e64 v31, s0, v45, v32, s0
	s_delay_alu instid0(VALU_DEP_3) | instskip(SKIP_3) | instid1(VALU_DEP_3)
	v_lshlrev_b64_e32 v[32:33], 3, v[42:43]
	v_add_co_u32 v42, s0, v34, v25
	s_wait_alu 0xf1ff
	v_add_co_ci_u32_e64 v43, s0, v45, v26, s0
	v_add_co_u32 v44, s0, v34, v32
	s_wait_alu 0xf1ff
	v_add_co_ci_u32_e64 v45, s0, v45, v33, s0
	s_clause 0x5
	global_load_b64 v[25:26], v[5:6], off
	global_load_b64 v[33:34], v[23:24], off
	;; [unrolled: 1-line block ×6, first 2 shown]
.LBB0_13:
	s_or_b32 exec_lo, exec_lo, s1
	s_wait_loadcnt 0x6
	v_dual_sub_f32 v12, v8, v12 :: v_dual_sub_f32 v19, v15, v19
	v_dual_sub_f32 v6, v7, v11 :: v_dual_sub_f32 v43, v9, v13
	s_wait_loadcnt 0x2
	v_dual_sub_f32 v22, v18, v22 :: v_dual_sub_f32 v47, v27, v31
	s_delay_alu instid0(VALU_DEP_3)
	v_fma_f32 v11, v8, 2.0, -v12
	v_sub_f32_e32 v8, v10, v14
	v_dual_sub_f32 v14, v17, v21 :: v_dual_sub_f32 v45, v26, v34
	v_fma_f32 v5, v7, 2.0, -v6
	s_wait_loadcnt 0x0
	v_dual_sub_f32 v51, v24, v30 :: v_dual_lshlrev_b32 v0, 2, v35
	s_delay_alu instid0(VALU_DEP_3)
	v_fma_f32 v13, v17, 2.0, -v14
	v_sub_f32_e32 v17, v25, v33
	v_fma_f32 v7, v10, 2.0, -v8
	v_dual_sub_f32 v10, v16, v20 :: v_dual_lshlrev_b32 v69, 2, v39
	v_lshl_add_u32 v20, v35, 3, 0
	v_fma_f32 v42, v9, 2.0, -v43
	v_sub_f32_e32 v49, v28, v32
	v_fma_f32 v44, v26, 2.0, -v45
	v_sub_f32_e32 v26, v23, v29
	v_lshl_add_u32 v31, v36, 3, 0
	v_lshl_add_u32 v32, v37, 3, 0
	v_fma_f32 v21, v18, 2.0, -v22
	v_fma_f32 v18, v15, 2.0, -v19
	v_lshl_add_u32 v33, v38, 3, 0
	v_fma_f32 v9, v16, 2.0, -v10
	v_fma_f32 v16, v25, 2.0, -v17
	;; [unrolled: 1-line block ×3, first 2 shown]
	v_lshl_add_u32 v27, v39, 3, 0
	s_load_b64 s[2:3], s[2:3], 0x0
	ds_store_b64 v20, v[5:6]
	ds_store_b64 v31, v[42:43]
	;; [unrolled: 1-line block ×3, first 2 shown]
	v_lshl_add_u32 v5, v40, 3, 0
	v_sub_nc_u32_e32 v0, v20, v0
	v_lshlrev_b32_e32 v66, 2, v37
	v_fma_f32 v48, v28, 2.0, -v49
	v_fma_f32 v25, v23, 2.0, -v26
	v_lshl_add_u32 v28, v41, 3, 0
	v_lshlrev_b32_e32 v68, 2, v38
	ds_store_b64 v33, v[18:19]
	ds_store_b64 v27, v[16:17]
	ds_store_b64 v5, v[46:47]
	ds_store_b64 v28, v[25:26]
	v_lshlrev_b32_e32 v19, 2, v40
	v_lshlrev_b32_e32 v29, 2, v41
	;; [unrolled: 1-line block ×3, first 2 shown]
	v_add_nc_u32_e32 v6, 0x1000, v0
	v_sub_nc_u32_e32 v67, v32, v66
	v_add_nc_u32_e32 v46, 0x1400, v0
	v_add_nc_u32_e32 v42, 0xc00, v0
	v_sub_nc_u32_e32 v70, v33, v68
	v_sub_nc_u32_e32 v47, v27, v69
	;; [unrolled: 1-line block ×4, first 2 shown]
	global_wb scope:SCOPE_SE
	s_wait_dscnt 0x0
	s_wait_kmcnt 0x0
	s_barrier_signal -1
	s_barrier_wait -1
	global_inv scope:SCOPE_SE
	ds_load_b32 v30, v0
	ds_load_2addr_b32 v[15:16], v42 offset0:114 offset1:240
	v_sub_nc_u32_e32 v34, v31, v65
	ds_load_2addr_b32 v[13:14], v6 offset0:110 offset1:236
	ds_load_2addr_b32 v[17:18], v46 offset0:106 offset1:232
	ds_load_b32 v71, v67
	ds_load_b32 v72, v70
	;; [unrolled: 1-line block ×6, first 2 shown]
	ds_load_b32 v43, v0 offset:6552
	global_wb scope:SCOPE_SE
	s_wait_dscnt 0x0
	s_barrier_signal -1
	s_barrier_wait -1
	global_inv scope:SCOPE_SE
	ds_store_b64 v20, v[11:12]
	ds_store_b64 v31, v[7:8]
	;; [unrolled: 1-line block ×3, first 2 shown]
	v_and_b32_e32 v7, 1, v35
	v_fma_f32 v50, v24, 2.0, -v51
	ds_store_b64 v33, v[9:10]
	ds_store_b64 v27, v[44:45]
	;; [unrolled: 1-line block ×4, first 2 shown]
	global_wb scope:SCOPE_SE
	s_wait_dscnt 0x0
	v_lshlrev_b32_e32 v5, 3, v7
	s_barrier_signal -1
	s_barrier_wait -1
	global_inv scope:SCOPE_SE
	v_lshlrev_b32_e32 v8, 1, v36
	global_load_b64 v[19:20], v5, s[8:9]
	v_lshlrev_b32_e32 v5, 1, v35
	v_lshlrev_b32_e32 v9, 1, v37
	;; [unrolled: 1-line block ×6, first 2 shown]
	v_and_or_b32 v5, 0xfc, v5, v7
	v_and_or_b32 v8, 0x1fc, v8, v7
	;; [unrolled: 1-line block ×7, first 2 shown]
	ds_load_b32 v62, v0
	ds_load_2addr_b32 v[25:26], v42 offset0:114 offset1:240
	ds_load_2addr_b32 v[23:24], v6 offset0:110 offset1:236
	;; [unrolled: 1-line block ×3, first 2 shown]
	ds_load_b32 v57, v67
	ds_load_b32 v58, v70
	;; [unrolled: 1-line block ×6, first 2 shown]
	ds_load_b32 v64, v0 offset:6552
	v_lshl_add_u32 v44, v5, 2, 0
	v_lshl_add_u32 v49, v8, 2, 0
	;; [unrolled: 1-line block ×6, first 2 shown]
	v_add_nc_u32_e32 v55, 0x800, v0
	v_lshl_add_u32 v53, v12, 2, 0
	v_add_nc_u32_e32 v56, 0x1200, v0
	v_add_nc_u32_e32 v45, 0x1600, v0
	global_wb scope:SCOPE_SE
	s_wait_loadcnt_dscnt 0x0
	s_barrier_signal -1
	s_barrier_wait -1
	global_inv scope:SCOPE_SE
	v_cmp_gt_u32_e64 s0, 0x54, v35
	v_mul_f32_e32 v9, v21, v20
	v_mul_f32_e32 v5, v25, v20
	;; [unrolled: 1-line block ×7, first 2 shown]
	v_fma_f32 v5, v15, v19, -v5
	v_fma_f32 v6, v16, v19, -v6
	;; [unrolled: 1-line block ×7, first 2 shown]
	v_dual_sub_f32 v5, v30, v5 :: v_dual_sub_f32 v6, v76, v6
	v_dual_sub_f32 v7, v71, v7 :: v_dual_sub_f32 v8, v72, v8
	s_delay_alu instid0(VALU_DEP_4) | instskip(NEXT) | instid1(VALU_DEP_4)
	v_dual_sub_f32 v9, v73, v9 :: v_dual_sub_f32 v10, v74, v10
	v_sub_f32_e32 v47, v75, v11
	s_delay_alu instid0(VALU_DEP_4)
	v_fma_f32 v11, v30, 2.0, -v5
	v_fma_f32 v12, v76, 2.0, -v6
	;; [unrolled: 1-line block ×7, first 2 shown]
	ds_store_2addr_b32 v44, v11, v5 offset1:2
	ds_store_2addr_b32 v49, v12, v6 offset1:2
	;; [unrolled: 1-line block ×7, first 2 shown]
	global_wb scope:SCOPE_SE
	s_wait_dscnt 0x0
	s_barrier_signal -1
	s_barrier_wait -1
	global_inv scope:SCOPE_SE
	ds_load_2addr_b32 v[11:12], v55 offset0:76 offset1:202
	ds_load_2addr_b32 v[9:10], v56 offset0:24 offset1:150
	;; [unrolled: 1-line block ×4, first 2 shown]
	ds_load_b32 v46, v0
	ds_load_b32 v41, v34
	;; [unrolled: 1-line block ×4, first 2 shown]
	v_sub_nc_u32_e32 v48, 0, v69
	v_sub_nc_u32_e32 v67, 0, v65
	;; [unrolled: 1-line block ×4, first 2 shown]
	s_delay_alu instid0(VALU_DEP_4)
	v_add_nc_u32_e32 v27, v27, v48
                                        ; implicit-def: $vgpr48
	s_and_saveexec_b32 s1, s0
	s_cbranch_execz .LBB0_15
; %bb.14:
	ds_load_b32 v47, v0 offset:4368
	ds_load_b32 v30, v27
	ds_load_b32 v48, v0 offset:6720
.LBB0_15:
	s_wait_alu 0xfffe
	s_or_b32 exec_lo, exec_lo, s1
	v_mul_f32_e32 v16, v16, v20
	v_mul_f32_e32 v15, v15, v20
	;; [unrolled: 1-line block ×5, first 2 shown]
	v_dual_mul_f32 v17, v17, v20 :: v_dual_fmac_f32 v16, v26, v19
	v_dual_fmac_f32 v15, v25, v19 :: v_dual_mul_f32 v20, v43, v20
	v_fmac_f32_e32 v14, v24, v19
	v_fmac_f32_e32 v13, v23, v19
	;; [unrolled: 1-line block ×3, first 2 shown]
	s_delay_alu instid0(VALU_DEP_4) | instskip(SKIP_3) | instid1(VALU_DEP_3)
	v_sub_f32_e32 v15, v62, v15
	v_fmac_f32_e32 v17, v21, v19
	v_fmac_f32_e32 v20, v64, v19
	v_dual_sub_f32 v16, v63, v16 :: v_dual_sub_f32 v13, v57, v13
	v_dual_sub_f32 v14, v58, v14 :: v_dual_sub_f32 v17, v59, v17
	v_fma_f32 v19, v62, 2.0, -v15
	v_sub_f32_e32 v18, v60, v18
	v_sub_f32_e32 v24, v61, v20
	v_fma_f32 v21, v63, 2.0, -v16
	v_fma_f32 v20, v57, 2.0, -v13
	;; [unrolled: 1-line block ×6, first 2 shown]
	global_wb scope:SCOPE_SE
	s_wait_dscnt 0x0
	s_barrier_signal -1
	s_barrier_wait -1
	global_inv scope:SCOPE_SE
	ds_store_2addr_b32 v44, v19, v15 offset1:2
	ds_store_2addr_b32 v49, v21, v16 offset1:2
	;; [unrolled: 1-line block ×7, first 2 shown]
	v_add_nc_u32_e32 v21, v31, v67
	v_add_nc_u32_e32 v22, v32, v66
	;; [unrolled: 1-line block ×3, first 2 shown]
	global_wb scope:SCOPE_SE
	s_wait_dscnt 0x0
	s_barrier_signal -1
	s_barrier_wait -1
	global_inv scope:SCOPE_SE
	ds_load_2addr_b32 v[19:20], v55 offset0:76 offset1:202
	ds_load_2addr_b32 v[15:16], v56 offset0:24 offset1:150
	;; [unrolled: 1-line block ×4, first 2 shown]
	ds_load_b32 v44, v0
	ds_load_b32 v43, v21
	;; [unrolled: 1-line block ×4, first 2 shown]
                                        ; implicit-def: $vgpr25
	s_and_saveexec_b32 s1, s0
	s_cbranch_execz .LBB0_17
; %bb.16:
	ds_load_b32 v24, v0 offset:4368
	ds_load_b32 v23, v27
	ds_load_b32 v25, v0 offset:6720
.LBB0_17:
	s_wait_alu 0xfffe
	s_or_b32 exec_lo, exec_lo, s1
	v_and_b32_e32 v45, 3, v35
	v_lshrrev_b32_e32 v50, 2, v36
	v_lshrrev_b32_e32 v51, 2, v37
	;; [unrolled: 1-line block ×3, first 2 shown]
	s_delay_alu instid0(VALU_DEP_4) | instskip(NEXT) | instid1(VALU_DEP_4)
	v_lshlrev_b32_e32 v33, 4, v45
	v_mul_lo_u32 v50, v50, 12
	s_delay_alu instid0(VALU_DEP_4) | instskip(NEXT) | instid1(VALU_DEP_4)
	v_mul_lo_u32 v51, v51, 12
	v_mul_lo_u32 v52, v52, 12
	global_load_b128 v[68:71], v33, s[8:9] offset:16
	v_and_b32_e32 v32, 3, v36
	s_delay_alu instid0(VALU_DEP_1)
	v_lshlrev_b32_e32 v49, 4, v32
	v_or_b32_e32 v32, v50, v32
	global_load_b128 v[72:75], v49, s[8:9] offset:16
	s_wait_loadcnt 0x1
	v_dual_mul_f32 v64, v11, v69 :: v_dual_and_b32 v33, 3, v38
	v_mul_f32_e32 v60, v9, v71
	v_mul_f32_e32 v58, v5, v71
	s_wait_dscnt 0x7
	s_delay_alu instid0(VALU_DEP_3)
	v_fmac_f32_e32 v64, v19, v68
	s_wait_dscnt 0x6
	v_fmac_f32_e32 v60, v15, v70
	s_wait_dscnt 0x4
	v_fmac_f32_e32 v58, v17, v70
	s_wait_loadcnt 0x0
	v_mul_f32_e32 v62, v12, v73
	v_lshlrev_b32_e32 v49, 4, v33
	v_or_b32_e32 v33, v52, v33
	v_lshl_add_u32 v52, v32, 2, 0
	v_mul_f32_e32 v32, v19, v69
	v_or_b32_e32 v50, v51, v45
	global_load_b128 v[76:79], v49, s[8:9] offset:16
	v_mul_f32_e32 v63, v20, v73
	v_mul_f32_e32 v65, v16, v75
	;; [unrolled: 1-line block ×3, first 2 shown]
	v_lshl_add_u32 v51, v50, 2, 0
	v_lshl_add_u32 v50, v33, 2, 0
	v_mul_f32_e32 v33, v15, v71
	v_mul_f32_e32 v73, v13, v69
	;; [unrolled: 1-line block ×3, first 2 shown]
	v_dual_mul_f32 v61, v7, v69 :: v_dual_fmac_f32 v62, v20, v72
	v_fma_f32 v66, v11, v68, -v32
	v_fma_f32 v67, v9, v70, -v33
	v_fma_f32 v19, v7, v68, -v73
	v_fma_f32 v20, v5, v70, -v75
	v_lshrrev_b32_e32 v49, 2, v35
	global_wb scope:SCOPE_SE
	s_wait_loadcnt_dscnt 0x0
	s_barrier_signal -1
	s_barrier_wait -1
	global_inv scope:SCOPE_SE
	v_mul_u32_u24_e32 v53, 12, v49
	v_lshrrev_b32_e32 v49, 2, v39
	s_delay_alu instid0(VALU_DEP_2) | instskip(NEXT) | instid1(VALU_DEP_1)
	v_or_b32_e32 v53, v53, v45
	v_lshl_add_u32 v53, v53, 2, 0
	v_mul_f32_e32 v80, v14, v77
	v_dual_mul_f32 v56, v8, v77 :: v_dual_mul_f32 v77, v18, v79
	v_dual_mul_f32 v54, v6, v79 :: v_dual_mul_f32 v79, v24, v69
	v_mul_f32_e32 v57, v47, v69
	v_mul_f32_e32 v69, v25, v71
	v_fma_f32 v63, v12, v72, -v63
	v_add_f32_e32 v12, v19, v20
	v_fma_f32 v65, v10, v74, -v65
	v_dual_fmac_f32 v59, v16, v74 :: v_dual_fmac_f32 v56, v14, v76
	v_fma_f32 v15, v6, v78, -v77
	v_dual_add_f32 v6, v66, v67 :: v_dual_fmac_f32 v61, v13, v68
	s_delay_alu instid0(VALU_DEP_3)
	v_sub_f32_e32 v10, v62, v59
	v_fma_f32 v13, v8, v76, -v80
	v_mul_f32_e32 v55, v48, v71
	v_fma_f32 v14, v47, v68, -v79
	v_fma_f32 v16, v48, v70, -v69
	v_fmac_f32_e32 v54, v18, v78
	v_dual_add_f32 v18, v34, v13 :: v_dual_fmac_f32 v57, v24, v68
	v_add_f32_e32 v8, v41, v63
	v_fmac_f32_e32 v55, v25, v70
	v_dual_add_f32 v5, v46, v66 :: v_dual_add_f32 v24, v13, v15
	v_dual_sub_f32 v7, v64, v60 :: v_dual_add_f32 v32, v30, v14
	v_dual_add_f32 v9, v63, v65 :: v_dual_fmac_f32 v46, -0.5, v6
	v_dual_add_f32 v11, v40, v19 :: v_dual_fmac_f32 v40, -0.5, v12
	v_add_f32_e32 v33, v14, v16
	v_dual_sub_f32 v17, v61, v58 :: v_dual_add_f32 v6, v8, v65
	s_delay_alu instid0(VALU_DEP_3)
	v_dual_add_f32 v8, v11, v20 :: v_dual_sub_f32 v47, v57, v55
	v_fmamk_f32 v11, v7, 0x3f5db3d7, v46
	v_fmac_f32_e32 v46, 0xbf5db3d7, v7
	v_dual_add_f32 v5, v5, v67 :: v_dual_fmac_f32 v30, -0.5, v33
	v_fmac_f32_e32 v41, -0.5, v9
	v_dual_sub_f32 v25, v56, v54 :: v_dual_fmac_f32 v34, -0.5, v24
	v_add_f32_e32 v24, v32, v16
	s_delay_alu instid0(VALU_DEP_4) | instskip(SKIP_1) | instid1(VALU_DEP_4)
	v_fmamk_f32 v32, v47, 0x3f5db3d7, v30
	v_fmac_f32_e32 v30, 0xbf5db3d7, v47
	v_dual_fmamk_f32 v7, v10, 0x3f5db3d7, v41 :: v_dual_fmamk_f32 v12, v25, 0x3f5db3d7, v34
	v_dual_fmac_f32 v41, 0xbf5db3d7, v10 :: v_dual_fmac_f32 v34, 0xbf5db3d7, v25
	v_dual_fmamk_f32 v10, v17, 0x3f5db3d7, v40 :: v_dual_add_f32 v9, v18, v15
	v_fmac_f32_e32 v40, 0xbf5db3d7, v17
	ds_store_2addr_b32 v53, v5, v11 offset1:4
	ds_store_b32 v53, v46 offset:32
	ds_store_2addr_b32 v52, v6, v7 offset1:4
	ds_store_b32 v52, v41 offset:32
	;; [unrolled: 2-line block ×4, first 2 shown]
	s_and_saveexec_b32 s1, s0
	s_cbranch_execz .LBB0_19
; %bb.18:
	v_mul_lo_u32 v5, v49, 12
	s_delay_alu instid0(VALU_DEP_1) | instskip(NEXT) | instid1(VALU_DEP_1)
	v_or_b32_e32 v5, v5, v45
	v_lshl_add_u32 v5, v5, 2, 0
	ds_store_2addr_b32 v5, v24, v32 offset1:4
	ds_store_b32 v5, v30 offset:32
.LBB0_19:
	s_wait_alu 0xfffe
	s_or_b32 exec_lo, exec_lo, s1
	v_add_nc_u32_e32 v5, 0x800, v0
	v_add_nc_u32_e32 v6, 0x1200, v0
	;; [unrolled: 1-line block ×4, first 2 shown]
	global_wb scope:SCOPE_SE
	s_wait_dscnt 0x0
	s_barrier_signal -1
	s_barrier_wait -1
	global_inv scope:SCOPE_SE
	ds_load_2addr_b32 v[11:12], v5 offset0:76 offset1:202
	ds_load_2addr_b32 v[9:10], v6 offset0:24 offset1:150
	;; [unrolled: 1-line block ×4, first 2 shown]
	ds_load_b32 v41, v0
	ds_load_b32 v40, v21
	ds_load_b32 v34, v22
	ds_load_b32 v33, v26
	s_and_saveexec_b32 s1, s0
	s_cbranch_execz .LBB0_21
; %bb.20:
	ds_load_b32 v32, v0 offset:4368
	ds_load_b32 v24, v27
	ds_load_b32 v30, v0 offset:6720
.LBB0_21:
	s_wait_alu 0xfffe
	s_or_b32 exec_lo, exec_lo, s1
	v_dual_add_f32 v17, v64, v60 :: v_dual_add_f32 v46, v62, v59
	v_dual_add_f32 v18, v44, v64 :: v_dual_sub_f32 v25, v66, v67
	s_delay_alu instid0(VALU_DEP_2) | instskip(NEXT) | instid1(VALU_DEP_2)
	v_dual_add_f32 v47, v61, v58 :: v_dual_fmac_f32 v44, -0.5, v17
	v_dual_add_f32 v17, v43, v62 :: v_dual_add_f32 v18, v18, v60
	s_delay_alu instid0(VALU_DEP_4) | instskip(NEXT) | instid1(VALU_DEP_3)
	v_dual_fmac_f32 v43, -0.5, v46 :: v_dual_add_f32 v46, v42, v61
	v_dual_sub_f32 v19, v19, v20 :: v_dual_fmamk_f32 v48, v25, 0xbf5db3d7, v44
	s_delay_alu instid0(VALU_DEP_3) | instskip(SKIP_1) | instid1(VALU_DEP_4)
	v_dual_fmac_f32 v44, 0x3f5db3d7, v25 :: v_dual_add_f32 v17, v17, v59
	v_dual_sub_f32 v25, v63, v65 :: v_dual_fmac_f32 v42, -0.5, v47
	v_dual_add_f32 v47, v46, v58 :: v_dual_add_f32 v46, v31, v56
	v_sub_f32_e32 v13, v13, v15
	s_delay_alu instid0(VALU_DEP_3) | instskip(SKIP_4) | instid1(VALU_DEP_3)
	v_fmamk_f32 v20, v25, 0xbf5db3d7, v43
	v_fmac_f32_e32 v43, 0x3f5db3d7, v25
	v_dual_add_f32 v25, v56, v54 :: v_dual_fmamk_f32 v58, v19, 0xbf5db3d7, v42
	v_fmac_f32_e32 v42, 0x3f5db3d7, v19
	v_dual_add_f32 v19, v57, v55 :: v_dual_sub_f32 v14, v14, v16
	v_fmac_f32_e32 v31, -0.5, v25
	v_dual_add_f32 v15, v23, v57 :: v_dual_add_f32 v16, v46, v54
	s_delay_alu instid0(VALU_DEP_3)
	v_fmac_f32_e32 v23, -0.5, v19
	global_wb scope:SCOPE_SE
	s_wait_dscnt 0x0
	v_fmamk_f32 v19, v13, 0xbf5db3d7, v31
	v_fmac_f32_e32 v31, 0x3f5db3d7, v13
	s_barrier_signal -1
	v_dual_fmamk_f32 v46, v14, 0xbf5db3d7, v23 :: v_dual_add_f32 v25, v15, v55
	v_fmac_f32_e32 v23, 0x3f5db3d7, v14
	s_barrier_wait -1
	global_inv scope:SCOPE_SE
	ds_store_2addr_b32 v53, v18, v48 offset1:4
	ds_store_b32 v53, v44 offset:32
	ds_store_2addr_b32 v52, v17, v20 offset1:4
	ds_store_b32 v52, v43 offset:32
	;; [unrolled: 2-line block ×4, first 2 shown]
	s_and_saveexec_b32 s1, s0
	s_cbranch_execz .LBB0_23
; %bb.22:
	v_mul_lo_u32 v13, v49, 12
	s_delay_alu instid0(VALU_DEP_1) | instskip(NEXT) | instid1(VALU_DEP_1)
	v_or_b32_e32 v13, v13, v45
	v_lshl_add_u32 v13, v13, 2, 0
	ds_store_2addr_b32 v13, v25, v46 offset1:4
	ds_store_b32 v13, v23 offset:32
.LBB0_23:
	s_wait_alu 0xfffe
	s_or_b32 exec_lo, exec_lo, s1
	v_add_nc_u32_e32 v13, 0x800, v0
	v_add_nc_u32_e32 v14, 0x1200, v0
	;; [unrolled: 1-line block ×4, first 2 shown]
	global_wb scope:SCOPE_SE
	s_wait_dscnt 0x0
	s_barrier_signal -1
	s_barrier_wait -1
	global_inv scope:SCOPE_SE
	ds_load_2addr_b32 v[19:20], v13 offset0:76 offset1:202
	ds_load_2addr_b32 v[17:18], v14 offset0:24 offset1:150
	;; [unrolled: 1-line block ×4, first 2 shown]
	ds_load_b32 v45, v0
	ds_load_b32 v44, v21
	;; [unrolled: 1-line block ×4, first 2 shown]
	s_and_saveexec_b32 s1, s0
	s_cbranch_execz .LBB0_25
; %bb.24:
	ds_load_b32 v46, v0 offset:4368
	ds_load_b32 v25, v27
	ds_load_b32 v23, v0 offset:6720
.LBB0_25:
	s_wait_alu 0xfffe
	s_or_b32 exec_lo, exec_lo, s1
	v_and_b32_e32 v31, 0xff, v35
	v_and_b32_e32 v48, 0xffff, v37
	v_sub_nc_u32_e32 v29, 0, v29
	s_delay_alu instid0(VALU_DEP_3) | instskip(NEXT) | instid1(VALU_DEP_3)
	v_mul_lo_u16 v47, 0xab, v31
	v_mul_u32_u24_e32 v48, 0xaaab, v48
	s_delay_alu instid0(VALU_DEP_2) | instskip(NEXT) | instid1(VALU_DEP_2)
	v_lshrrev_b16 v47, 11, v47
	v_lshrrev_b32_e32 v48, 19, v48
	s_delay_alu instid0(VALU_DEP_2) | instskip(NEXT) | instid1(VALU_DEP_2)
	v_mul_lo_u16 v51, v47, 12
	v_mul_lo_u16 v54, v48, 12
	v_mul_u32_u24_e32 v48, 0x90, v48
	s_delay_alu instid0(VALU_DEP_3) | instskip(NEXT) | instid1(VALU_DEP_3)
	v_sub_nc_u16 v51, v35, v51
	v_sub_nc_u16 v37, v37, v54
	s_delay_alu instid0(VALU_DEP_2) | instskip(NEXT) | instid1(VALU_DEP_1)
	v_and_b32_e32 v51, 0xff, v51
	v_lshlrev_b32_e32 v54, 4, v51
	global_load_b128 v[62:65], v54, s[8:9] offset:80
	v_and_b32_e32 v26, 0xff, v36
	v_and_b32_e32 v50, 0xffff, v38
	s_delay_alu instid0(VALU_DEP_2) | instskip(NEXT) | instid1(VALU_DEP_2)
	v_mul_lo_u16 v49, 0xab, v26
	v_mul_u32_u24_e32 v50, 0xaaab, v50
	s_delay_alu instid0(VALU_DEP_2) | instskip(NEXT) | instid1(VALU_DEP_2)
	v_lshrrev_b16 v49, 11, v49
	v_lshrrev_b32_e32 v50, 19, v50
	s_delay_alu instid0(VALU_DEP_2) | instskip(NEXT) | instid1(VALU_DEP_2)
	v_mul_lo_u16 v53, v49, 12
	v_mul_lo_u16 v55, v50, 12
	s_delay_alu instid0(VALU_DEP_2) | instskip(NEXT) | instid1(VALU_DEP_2)
	v_sub_nc_u16 v53, v36, v53
	v_sub_nc_u16 v38, v38, v55
	v_and_b32_e32 v55, 0xffff, v37
	s_delay_alu instid0(VALU_DEP_3) | instskip(NEXT) | instid1(VALU_DEP_1)
	v_and_b32_e32 v53, 0xff, v53
	v_lshlrev_b32_e32 v37, 4, v53
	global_load_b128 v[66:69], v37, s[8:9] offset:80
	v_and_b32_e32 v52, 0xffff, v39
	s_delay_alu instid0(VALU_DEP_1) | instskip(NEXT) | instid1(VALU_DEP_1)
	v_mul_u32_u24_e32 v52, 0xaaab, v52
	v_lshrrev_b32_e32 v52, 19, v52
	s_delay_alu instid0(VALU_DEP_1) | instskip(NEXT) | instid1(VALU_DEP_1)
	v_mul_lo_u16 v56, v52, 12
	v_sub_nc_u16 v39, v39, v56
	s_wait_loadcnt 0x1
	s_delay_alu instid0(VALU_DEP_1) | instskip(SKIP_1) | instid1(VALU_DEP_1)
	v_dual_mul_f32 v58, v9, v65 :: v_dual_and_b32 v39, 0xffff, v39
	s_wait_dscnt 0x6
	v_dual_mul_f32 v61, v11, v63 :: v_dual_fmac_f32 v58, v17, v64
	s_wait_loadcnt 0x0
	s_delay_alu instid0(VALU_DEP_1) | instskip(SKIP_2) | instid1(VALU_DEP_3)
	v_dual_fmac_f32 v61, v19, v62 :: v_dual_mul_f32 v60, v12, v67
	v_lshlrev_b32_e32 v54, 4, v55
	v_and_b32_e32 v47, 0xffff, v47
	v_dual_mul_f32 v59, v10, v69 :: v_dual_fmac_f32 v60, v20, v66
	global_load_b128 v[70:73], v54, s[8:9] offset:80
	v_and_b32_e32 v38, 0xffff, v38
	v_lshlrev_b32_e32 v54, 4, v39
	v_mul_u32_u24_e32 v47, 0x90, v47
	s_delay_alu instid0(VALU_DEP_3)
	v_lshlrev_b32_e32 v37, 4, v38
	s_clause 0x1
	global_load_b128 v[74:77], v37, s[8:9] offset:80
	global_load_b128 v[78:81], v54, s[8:9] offset:80
	v_mul_u32_u24_e32 v54, 0x90, v50
	v_mul_lo_u16 v37, v52, 36
	v_lshlrev_b32_e32 v50, 2, v51
	v_lshlrev_b32_e32 v52, 2, v53
	;; [unrolled: 1-line block ×5, first 2 shown]
	global_wb scope:SCOPE_SE
	s_wait_loadcnt_dscnt 0x0
	s_barrier_signal -1
	v_add3_u32 v48, 0, v48, v53
	s_barrier_wait -1
	global_inv scope:SCOPE_SE
	v_dual_mul_f32 v56, v7, v71 :: v_dual_and_b32 v49, 0xffff, v49
	s_delay_alu instid0(VALU_DEP_1) | instskip(NEXT) | instid1(VALU_DEP_2)
	v_fmac_f32_e32 v56, v15, v70
	v_mul_u32_u24_e32 v49, 0x90, v49
	v_mul_f32_e32 v53, v6, v77
	v_add3_u32 v51, 0, v47, v50
	v_add3_u32 v47, 0, v54, v55
	v_dual_mul_f32 v54, v19, v63 :: v_dual_mul_f32 v55, v17, v65
	v_mul_f32_e32 v63, v20, v67
	v_mul_f32_e32 v65, v18, v69
	;; [unrolled: 1-line block ×5, first 2 shown]
	v_add3_u32 v50, 0, v49, v52
	v_mul_f32_e32 v52, v5, v73
	v_mul_f32_e32 v73, v14, v77
	v_fma_f32 v11, v11, v62, -v54
	v_fma_f32 v19, v9, v64, -v55
	;; [unrolled: 1-line block ×4, first 2 shown]
	v_mul_f32_e32 v57, v8, v75
	v_mul_f32_e32 v39, v30, v81
	v_fma_f32 v7, v7, v70, -v67
	v_fma_f32 v5, v5, v72, -v69
	v_fmac_f32_e32 v52, v13, v72
	v_fma_f32 v54, v8, v74, -v71
	v_add_f32_e32 v8, v11, v19
	v_fma_f32 v55, v6, v76, -v73
	v_dual_add_f32 v6, v41, v11 :: v_dual_add_f32 v13, v40, v9
	v_dual_fmac_f32 v53, v14, v76 :: v_dual_add_f32 v14, v9, v10
	v_dual_mul_f32 v49, v32, v79 :: v_dual_add_f32 v20, v33, v54
	s_delay_alu instid0(VALU_DEP_3) | instskip(NEXT) | instid1(VALU_DEP_3)
	v_dual_fmac_f32 v57, v16, v74 :: v_dual_add_f32 v6, v6, v19
	v_dual_fmac_f32 v39, v23, v80 :: v_dual_fmac_f32 v40, -0.5, v14
	s_delay_alu instid0(VALU_DEP_3)
	v_dual_add_f32 v17, v7, v5 :: v_dual_add_f32 v14, v20, v55
	v_dual_fmac_f32 v41, -0.5, v8 :: v_dual_add_f32 v8, v13, v10
	v_fmac_f32_e32 v59, v18, v68
	v_dual_mul_f32 v75, v46, v79 :: v_dual_sub_f32 v18, v56, v52
	v_dual_mul_f32 v77, v23, v81 :: v_dual_add_f32 v16, v34, v7
	v_dual_sub_f32 v12, v61, v58 :: v_dual_add_f32 v23, v54, v55
	v_dual_fmac_f32 v49, v46, v78 :: v_dual_fmac_f32 v34, -0.5, v17
	v_dual_sub_f32 v46, v57, v53 :: v_dual_sub_f32 v15, v60, v59
	v_fma_f32 v32, v32, v78, -v75
	v_fma_f32 v30, v30, v80, -v77
	v_add_f32_e32 v13, v16, v5
	v_fmamk_f32 v16, v12, 0x3f5db3d7, v41
	v_fmac_f32_e32 v33, -0.5, v23
	v_fmac_f32_e32 v41, 0xbf5db3d7, v12
	v_fmamk_f32 v12, v15, 0x3f5db3d7, v40
	v_fmac_f32_e32 v40, 0xbf5db3d7, v15
	v_fmamk_f32 v15, v18, 0x3f5db3d7, v34
	;; [unrolled: 2-line block ×3, first 2 shown]
	v_fmac_f32_e32 v33, 0xbf5db3d7, v46
	ds_store_2addr_b32 v51, v6, v16 offset1:12
	ds_store_b32 v51, v41 offset:96
	ds_store_2addr_b32 v50, v8, v12 offset1:12
	ds_store_b32 v50, v40 offset:96
	;; [unrolled: 2-line block ×4, first 2 shown]
	s_and_saveexec_b32 s1, s0
	s_cbranch_execz .LBB0_27
; %bb.26:
	v_add_f32_e32 v6, v32, v30
	v_dual_add_f32 v13, v24, v32 :: v_dual_and_b32 v8, 0xffff, v37
	v_sub_f32_e32 v12, v49, v39
	s_delay_alu instid0(VALU_DEP_3) | instskip(NEXT) | instid1(VALU_DEP_3)
	v_fma_f32 v6, -0.5, v6, v24
	v_dual_add_f32 v13, v13, v30 :: v_dual_lshlrev_b32 v8, 2, v8
	s_delay_alu instid0(VALU_DEP_2) | instskip(SKIP_1) | instid1(VALU_DEP_3)
	v_fmamk_f32 v14, v12, 0xbf5db3d7, v6
	v_fmac_f32_e32 v6, 0x3f5db3d7, v12
	v_add3_u32 v8, 0, v38, v8
	ds_store_2addr_b32 v8, v13, v6 offset1:12
	ds_store_b32 v8, v14 offset:96
.LBB0_27:
	s_wait_alu 0xfffe
	s_or_b32 exec_lo, exec_lo, s1
	v_dual_add_f32 v6, v61, v58 :: v_dual_sub_f32 v11, v11, v19
	v_add_f32_e32 v8, v45, v61
	v_dual_add_f32 v12, v60, v59 :: v_dual_sub_f32 v9, v9, v10
	s_delay_alu instid0(VALU_DEP_3) | instskip(NEXT) | instid1(VALU_DEP_2)
	v_dual_fmac_f32 v45, -0.5, v6 :: v_dual_add_f32 v6, v44, v60
	v_dual_add_f32 v33, v8, v58 :: v_dual_fmac_f32 v44, -0.5, v12
	v_dual_add_f32 v8, v57, v53 :: v_dual_add_nc_u32 v15, 0xc00, v0
	s_delay_alu instid0(VALU_DEP_3) | instskip(SKIP_1) | instid1(VALU_DEP_4)
	v_fmamk_f32 v34, v11, 0xbf5db3d7, v45
	v_fmac_f32_e32 v45, 0x3f5db3d7, v11
	v_dual_fmamk_f32 v41, v9, 0xbf5db3d7, v44 :: v_dual_add_f32 v40, v6, v59
	v_dual_add_f32 v6, v56, v52 :: v_dual_add_f32 v57, v42, v57
	v_dual_add_f32 v46, v43, v56 :: v_dual_add_nc_u32 v13, v28, v29
	v_dual_sub_f32 v56, v7, v5 :: v_dual_add_nc_u32 v17, 0x1000, v0
	v_add_nc_u32_e32 v18, 0x1400, v0
	v_dual_fmac_f32 v44, 0x3f5db3d7, v9 :: v_dual_sub_f32 v29, v54, v55
	v_dual_fmac_f32 v43, -0.5, v6 :: v_dual_fmac_f32 v42, -0.5, v8
	v_add_f32_e32 v53, v57, v53
	global_wb scope:SCOPE_SE
	s_wait_dscnt 0x0
	s_barrier_signal -1
	s_barrier_wait -1
	global_inv scope:SCOPE_SE
	ds_load_b32 v14, v0
	v_add_nc_u32_e32 v19, 0x5e0, v0
	ds_load_b32 v24, v27
	ds_load_b32 v23, v13
	ds_load_2addr_b32 v[9:10], v15 offset0:114 offset1:240
	ds_load_2addr_b32 v[7:8], v17 offset0:110 offset1:236
	;; [unrolled: 1-line block ×4, first 2 shown]
	ds_load_b32 v28, v22
	ds_load_b32 v16, v21
	ds_load_b32 v20, v0 offset:6552
	v_add_f32_e32 v46, v46, v52
	v_fmamk_f32 v52, v56, 0xbf5db3d7, v43
	v_fmac_f32_e32 v43, 0x3f5db3d7, v56
	v_fmamk_f32 v54, v29, 0xbf5db3d7, v42
	v_fmac_f32_e32 v42, 0x3f5db3d7, v29
	global_wb scope:SCOPE_SE
	s_wait_dscnt 0x0
	s_barrier_signal -1
	s_barrier_wait -1
	global_inv scope:SCOPE_SE
	ds_store_2addr_b32 v51, v33, v34 offset1:12
	ds_store_b32 v51, v45 offset:96
	ds_store_2addr_b32 v50, v40, v41 offset1:12
	ds_store_b32 v50, v44 offset:96
	;; [unrolled: 2-line block ×4, first 2 shown]
	s_and_saveexec_b32 s1, s0
	s_cbranch_execz .LBB0_29
; %bb.28:
	v_dual_add_f32 v29, v49, v39 :: v_dual_sub_f32 v30, v32, v30
	v_add_f32_e32 v34, v25, v49
	v_and_b32_e32 v33, 0xffff, v37
	s_delay_alu instid0(VALU_DEP_2) | instskip(NEXT) | instid1(VALU_DEP_2)
	v_dual_fmac_f32 v25, -0.5, v29 :: v_dual_add_f32 v32, v34, v39
	v_lshlrev_b32_e32 v29, 2, v33
	s_delay_alu instid0(VALU_DEP_2) | instskip(SKIP_1) | instid1(VALU_DEP_3)
	v_fmamk_f32 v33, v30, 0xbf5db3d7, v25
	v_fmamk_f32 v25, v30, 0x3f5db3d7, v25
	v_add3_u32 v29, 0, v38, v29
	ds_store_2addr_b32 v29, v32, v33 offset1:12
	ds_store_b32 v29, v25 offset:96
.LBB0_29:
	s_wait_alu 0xfffe
	s_or_b32 exec_lo, exec_lo, s1
	v_mul_lo_u16 v25, v31, 57
	v_mul_lo_u16 v26, v26, 57
	global_wb scope:SCOPE_SE
	s_wait_dscnt 0x0
	s_barrier_signal -1
	s_barrier_wait -1
	v_lshrrev_b16 v25, 11, v25
	v_lshrrev_b16 v26, 11, v26
	global_inv scope:SCOPE_SE
	v_mul_lo_u16 v29, v25, 36
	v_and_b32_e32 v66, 0xffff, v26
	s_delay_alu instid0(VALU_DEP_2) | instskip(NEXT) | instid1(VALU_DEP_1)
	v_sub_nc_u16 v29, v35, v29
	v_and_b32_e32 v59, 0xff, v29
	v_mul_lo_u16 v29, v26, 36
	s_delay_alu instid0(VALU_DEP_2) | instskip(NEXT) | instid1(VALU_DEP_2)
	v_mul_u32_u24_e32 v30, 6, v59
	v_sub_nc_u16 v29, v36, v29
	s_delay_alu instid0(VALU_DEP_2) | instskip(NEXT) | instid1(VALU_DEP_2)
	v_lshlrev_b32_e32 v33, 3, v30
	v_and_b32_e32 v60, 0xff, v29
	s_clause 0x1
	global_load_b128 v[29:32], v33, s[8:9] offset:272
	global_load_b128 v[37:40], v33, s[8:9] offset:288
	v_mul_u32_u24_e32 v34, 6, v60
	v_and_b32_e32 v65, 0xffff, v25
	v_lshlrev_b32_e32 v67, 2, v59
	s_delay_alu instid0(VALU_DEP_3) | instskip(NEXT) | instid1(VALU_DEP_3)
	v_lshlrev_b32_e32 v34, 3, v34
	v_mul_u32_u24_e32 v65, 0x3f0, v65
	s_clause 0x3
	global_load_b128 v[41:44], v33, s[8:9] offset:304
	global_load_b128 v[45:48], v34, s[8:9] offset:272
	global_load_b128 v[49:52], v34, s[8:9] offset:288
	global_load_b128 v[53:56], v34, s[8:9] offset:304
	ds_load_b32 v61, v0
	ds_load_b32 v62, v27
	;; [unrolled: 1-line block ×4, first 2 shown]
	ds_load_2addr_b32 v[25:26], v15 offset0:114 offset1:240
	ds_load_2addr_b32 v[33:34], v17 offset0:110 offset1:236
	;; [unrolled: 1-line block ×3, first 2 shown]
	s_wait_loadcnt_dscnt 0x402
	v_dual_mul_f32 v71, v64, v38 :: v_dual_mul_f32 v72, v26, v40
	v_mul_f32_e32 v38, v23, v38
	v_add3_u32 v65, 0, v65, v67
	v_dual_mul_f32 v67, v63, v30 :: v_dual_lshlrev_b32 v68, 2, v60
	ds_load_2addr_b32 v[59:60], v19 offset0:2 offset1:254
	ds_load_b32 v69, v21
	ds_load_b32 v70, v0 offset:6552
	s_wait_loadcnt_dscnt 0x304
	v_mul_f32_e32 v73, v34, v42
	s_wait_loadcnt_dscnt 0x103
	v_dual_mul_f32 v74, v58, v44 :: v_dual_mul_f32 v77, v25, v50
	v_mul_f32_e32 v30, v28, v30
	v_mul_f32_e32 v40, v10, v40
	s_wait_loadcnt 0x0
	v_dual_mul_f32 v44, v6, v44 :: v_dual_mul_f32 v79, v57, v54
	v_fma_f32 v28, v28, v29, -v67
	v_fma_f32 v23, v23, v37, -v71
	;; [unrolled: 1-line block ×4, first 2 shown]
	v_mul_f32_e32 v78, v33, v52
	v_fmac_f32_e32 v38, v64, v37
	global_wb scope:SCOPE_SE
	s_wait_dscnt 0x0
	s_barrier_signal -1
	s_barrier_wait -1
	global_inv scope:SCOPE_SE
	v_dual_mul_f32 v76, v60, v48 :: v_dual_mul_f32 v75, v59, v46
	v_fmac_f32_e32 v40, v26, v39
	v_mul_f32_e32 v52, v7, v52
	v_fma_f32 v7, v7, v51, -v78
	v_mul_f32_e32 v54, v5, v54
	v_fma_f32 v5, v5, v53, -v79
	;; [unrolled: 2-line block ×5, first 2 shown]
	v_add_f32_e32 v39, v9, v7
	v_sub_f32_e32 v7, v7, v9
	v_dual_add_f32 v37, v12, v5 :: v_dual_fmac_f32 v52, v33, v51
	v_sub_f32_e32 v5, v12, v5
	v_fmac_f32_e32 v50, v25, v49
	v_dual_mul_f32 v80, v70, v56 :: v_dual_add_f32 v25, v28, v6
	v_mul_f32_e32 v56, v20, v56
	v_sub_f32_e32 v6, v28, v6
	s_delay_alu instid0(VALU_DEP_4) | instskip(NEXT) | instid1(VALU_DEP_4)
	v_sub_f32_e32 v9, v52, v50
	v_fma_f32 v20, v20, v55, -v80
	v_mul_f32_e32 v42, v8, v42
	v_fma_f32 v8, v8, v41, -v73
	s_delay_alu instid0(VALU_DEP_3) | instskip(SKIP_3) | instid1(VALU_DEP_4)
	v_add_f32_e32 v33, v11, v20
	v_sub_f32_e32 v11, v11, v20
	v_mul_u32_u24_e32 v66, 0x3f0, v66
	v_fmac_f32_e32 v42, v34, v41
	v_dual_fmac_f32 v44, v58, v43 :: v_dual_add_f32 v49, v37, v33
	v_dual_fmac_f32 v48, v60, v47 :: v_dual_sub_f32 v51, v37, v33
	s_delay_alu instid0(VALU_DEP_4) | instskip(SKIP_4) | instid1(VALU_DEP_4)
	v_add3_u32 v66, 0, v66, v68
	v_mul_f32_e32 v68, v62, v32
	v_dual_mul_f32 v32, v24, v32 :: v_dual_sub_f32 v37, v39, v37
	v_sub_f32_e32 v33, v33, v39
	v_add_f32_e32 v39, v39, v49
	v_fma_f32 v24, v24, v31, -v68
	s_delay_alu instid0(VALU_DEP_4) | instskip(SKIP_1) | instid1(VALU_DEP_3)
	v_dual_fmac_f32 v32, v62, v31 :: v_dual_add_f32 v31, v23, v10
	v_fmac_f32_e32 v30, v63, v29
	v_dual_sub_f32 v10, v10, v23 :: v_dual_add_f32 v29, v24, v8
	v_mul_f32_e32 v49, 0x3d64c772, v37
	v_mul_f32_e32 v33, 0x3f4a47b2, v33
	s_delay_alu instid0(VALU_DEP_3) | instskip(SKIP_3) | instid1(VALU_DEP_4)
	v_dual_add_f32 v41, v29, v25 :: v_dual_sub_f32 v8, v24, v8
	v_sub_f32_e32 v43, v29, v25
	v_sub_f32_e32 v25, v25, v31
	;; [unrolled: 1-line block ×3, first 2 shown]
	v_add_f32_e32 v31, v31, v41
	v_dual_fmac_f32 v46, v59, v45 :: v_dual_sub_f32 v47, v10, v8
	v_dual_fmac_f32 v54, v57, v53 :: v_dual_add_f32 v45, v10, v8
	v_dual_fmac_f32 v56, v70, v55 :: v_dual_add_f32 v53, v7, v5
	v_dual_sub_f32 v55, v7, v5 :: v_dual_sub_f32 v10, v6, v10
	v_add_f32_e32 v14, v14, v31
	v_sub_f32_e32 v8, v8, v6
	v_dual_add_f32 v6, v45, v6 :: v_dual_mul_f32 v45, 0xbf08b237, v47
	v_sub_f32_e32 v12, v48, v54
	v_add_f32_e32 v26, v30, v44
	v_dual_sub_f32 v24, v32, v42 :: v_dual_mul_f32 v25, 0x3f4a47b2, v25
	v_dual_sub_f32 v23, v40, v38 :: v_dual_add_f32 v34, v46, v56
	v_sub_f32_e32 v20, v46, v56
	v_sub_f32_e32 v28, v30, v44
	v_dual_add_f32 v30, v32, v42 :: v_dual_sub_f32 v5, v5, v11
	v_dual_add_f32 v32, v38, v40 :: v_dual_mul_f32 v41, 0x3d64c772, v29
	v_add_f32_e32 v38, v48, v54
	v_add_f32_e32 v54, v9, v12
	v_sub_f32_e32 v56, v9, v12
	v_add_f32_e32 v42, v30, v26
	v_sub_f32_e32 v44, v30, v26
	v_dual_sub_f32 v26, v26, v32 :: v_dual_fmamk_f32 v29, v29, 0x3d64c772, v25
	v_sub_f32_e32 v30, v32, v30
	v_dual_add_f32 v46, v23, v24 :: v_dual_fmamk_f32 v37, v37, 0x3d64c772, v33
	v_sub_f32_e32 v7, v11, v7
	v_add_f32_e32 v11, v53, v11
	v_sub_f32_e32 v9, v20, v9
	v_sub_f32_e32 v12, v12, v20
	v_add_f32_e32 v20, v54, v20
	v_mul_f32_e32 v54, 0xbf08b237, v56
	v_sub_f32_e32 v48, v23, v24
	v_fma_f32 v41, 0x3f3bfb3b, v43, -v41
	v_fma_f32 v25, 0xbf3bfb3b, v43, -v25
	v_dual_fmamk_f32 v43, v10, 0x3eae86e6, v45 :: v_dual_sub_f32 v24, v24, v28
	v_dual_add_f32 v40, v50, v52 :: v_dual_mul_f32 v53, 0xbf08b237, v55
	v_dual_sub_f32 v23, v28, v23 :: v_dual_add_f32 v28, v46, v28
	v_mul_f32_e32 v26, 0x3f4a47b2, v26
	v_mul_f32_e32 v46, 0xbf08b237, v48
	v_dual_mul_f32 v55, 0x3f5ff5aa, v5 :: v_dual_add_f32 v32, v32, v42
	v_mul_f32_e32 v42, 0x3d64c772, v30
	v_mul_f32_e32 v56, 0x3f5ff5aa, v12
	v_fmac_f32_e32 v43, 0x3ee1c552, v6
	v_mul_f32_e32 v48, 0x3f5ff5aa, v24
	v_dual_add_f32 v57, v61, v32 :: v_dual_fmamk_f32 v30, v30, 0x3d64c772, v26
	v_fma_f32 v42, 0x3f3bfb3b, v44, -v42
	v_fma_f32 v26, 0xbf3bfb3b, v44, -v26
	v_fmamk_f32 v44, v23, 0x3eae86e6, v46
	v_fma_f32 v24, 0x3f5ff5aa, v24, -v46
	v_fma_f32 v23, 0xbeae86e6, v23, -v48
	v_add_f32_e32 v50, v38, v34
	v_fma_f32 v46, 0x3f3bfb3b, v51, -v49
	v_fma_f32 v33, 0xbf3bfb3b, v51, -v33
	v_fmamk_f32 v48, v7, 0x3eae86e6, v53
	v_fmac_f32_e32 v23, 0x3ee1c552, v28
	v_dual_fmamk_f32 v49, v9, 0x3eae86e6, v54 :: v_dual_sub_f32 v52, v38, v34
	v_sub_f32_e32 v38, v40, v38
	v_fma_f32 v51, 0xbeae86e6, v7, -v55
	v_fma_f32 v7, 0xbeae86e6, v9, -v56
	v_fmamk_f32 v9, v31, 0xbf955555, v14
	v_mul_f32_e32 v47, 0x3f5ff5aa, v8
	v_fma_f32 v8, 0x3f5ff5aa, v8, -v45
	v_dual_sub_f32 v34, v34, v40 :: v_dual_fmac_f32 v51, 0x3ee1c552, v11
	v_dual_fmac_f32 v49, 0x3ee1c552, v20 :: v_dual_fmac_f32 v48, 0x3ee1c552, v11
	s_delay_alu instid0(VALU_DEP_3) | instskip(SKIP_3) | instid1(VALU_DEP_3)
	v_fmac_f32_e32 v8, 0x3ee1c552, v6
	v_add_f32_e32 v40, v40, v50
	v_mul_f32_e32 v50, 0x3d64c772, v38
	v_fmac_f32_e32 v7, 0x3ee1c552, v20
	v_add_f32_e32 v45, v69, v40
	v_fma_f32 v10, 0xbeae86e6, v10, -v47
	s_delay_alu instid0(VALU_DEP_4) | instskip(SKIP_1) | instid1(VALU_DEP_3)
	v_fma_f32 v47, 0x3f3bfb3b, v52, -v50
	v_fma_f32 v50, 0x3f5ff5aa, v5, -v53
	v_fmac_f32_e32 v10, 0x3ee1c552, v6
	s_delay_alu instid0(VALU_DEP_2) | instskip(SKIP_4) | instid1(VALU_DEP_4)
	v_fmac_f32_e32 v50, 0x3ee1c552, v11
	v_dual_add_f32 v16, v16, v39 :: v_dual_add_f32 v11, v29, v9
	v_fma_f32 v5, 0x3f5ff5aa, v12, -v54
	v_dual_fmamk_f32 v12, v32, 0xbf955555, v57 :: v_dual_add_f32 v29, v41, v9
	v_fmac_f32_e32 v24, 0x3ee1c552, v28
	v_fmamk_f32 v6, v39, 0xbf955555, v16
	s_delay_alu instid0(VALU_DEP_4) | instskip(NEXT) | instid1(VALU_DEP_4)
	v_fmac_f32_e32 v5, 0x3ee1c552, v20
	v_add_f32_e32 v20, v30, v12
	v_dual_add_f32 v30, v42, v12 :: v_dual_add_f32 v9, v25, v9
	v_add_f32_e32 v12, v26, v12
	v_mul_f32_e32 v34, 0x3f4a47b2, v34
	v_dual_fmac_f32 v44, 0x3ee1c552, v28 :: v_dual_add_f32 v25, v37, v6
	s_delay_alu instid0(VALU_DEP_4)
	v_add_f32_e32 v37, v23, v9
	v_dual_sub_f32 v39, v29, v24 :: v_dual_add_f32 v24, v24, v29
	v_dual_sub_f32 v29, v30, v8 :: v_dual_fmamk_f32 v28, v40, 0xbf955555, v45
	v_add_f32_e32 v40, v8, v30
	v_dual_sub_f32 v8, v9, v23 :: v_dual_add_f32 v23, v10, v12
	v_fmamk_f32 v38, v38, 0x3d64c772, v34
	v_add_f32_e32 v31, v46, v6
	v_add_f32_e32 v6, v33, v6
	v_fma_f32 v34, 0xbf3bfb3b, v52, -v34
	v_add_f32_e32 v32, v47, v28
	v_dual_add_f32 v26, v38, v28 :: v_dual_add_f32 v33, v44, v11
	v_dual_sub_f32 v9, v11, v44 :: v_dual_sub_f32 v38, v12, v10
	v_dual_add_f32 v10, v49, v25 :: v_dual_add_f32 v11, v7, v6
	v_dual_sub_f32 v12, v31, v5 :: v_dual_add_f32 v5, v5, v31
	v_dual_sub_f32 v6, v6, v7 :: v_dual_sub_f32 v7, v25, v49
	v_add_f32_e32 v28, v34, v28
	v_sub_f32_e32 v34, v20, v43
	v_add_f32_e32 v30, v43, v20
	v_add_f32_e32 v43, v50, v32
	;; [unrolled: 1-line block ×3, first 2 shown]
	ds_store_2addr_b32 v65, v14, v33 offset1:36
	ds_store_2addr_b32 v65, v37, v39 offset0:72 offset1:108
	ds_store_2addr_b32 v65, v24, v8 offset0:144 offset1:180
	ds_store_b32 v65, v9 offset:864
	ds_store_2addr_b32 v66, v16, v10 offset1:36
	ds_store_2addr_b32 v66, v11, v12 offset0:72 offset1:108
	ds_store_2addr_b32 v66, v5, v6 offset0:144 offset1:180
	ds_store_b32 v66, v7 offset:864
	global_wb scope:SCOPE_SE
	s_wait_dscnt 0x0
	s_barrier_signal -1
	s_barrier_wait -1
	global_inv scope:SCOPE_SE
	ds_load_b32 v14, v0
	ds_load_b32 v16, v27
	;; [unrolled: 1-line block ×3, first 2 shown]
	ds_load_2addr_b32 v[5:6], v15 offset0:114 offset1:240
	ds_load_2addr_b32 v[11:12], v17 offset0:110 offset1:236
	;; [unrolled: 1-line block ×4, first 2 shown]
	ds_load_b32 v17, v22
	ds_load_b32 v15, v21
	ds_load_b32 v18, v0 offset:6552
	v_dual_sub_f32 v41, v26, v48 :: v_dual_sub_f32 v42, v28, v51
	v_dual_sub_f32 v19, v32, v50 :: v_dual_add_f32 v24, v51, v28
	global_wb scope:SCOPE_SE
	s_wait_dscnt 0x0
	s_barrier_signal -1
	s_barrier_wait -1
	global_inv scope:SCOPE_SE
	ds_store_2addr_b32 v65, v57, v34 offset1:36
	ds_store_2addr_b32 v65, v38, v40 offset0:72 offset1:108
	ds_store_2addr_b32 v65, v29, v23 offset0:144 offset1:180
	ds_store_b32 v65, v30 offset:864
	ds_store_2addr_b32 v66, v45, v41 offset1:36
	ds_store_2addr_b32 v66, v42, v43 offset0:72 offset1:108
	ds_store_2addr_b32 v66, v19, v24 offset0:144 offset1:180
	ds_store_b32 v66, v25 offset:864
	global_wb scope:SCOPE_SE
	s_wait_dscnt 0x0
	s_barrier_signal -1
	s_barrier_wait -1
	global_inv scope:SCOPE_SE
	s_and_saveexec_b32 s0, vcc_lo
	s_cbranch_execz .LBB0_31
; %bb.30:
	v_mul_i32_i24_e32 v32, 6, v36
	v_dual_mov_b32 v33, 0 :: v_dual_add_nc_u32 v34, 0x1000, v0
	v_mul_u32_u24_e32 v19, 6, v35
	v_lshrrev_b32_e32 v53, 2, v35
	v_add_nc_u32_e32 v52, 0xc00, v0
	s_delay_alu instid0(VALU_DEP_4)
	v_lshlrev_b64_e32 v[32:33], 3, v[32:33]
	v_add_nc_u32_e32 v54, 0x1400, v0
	v_lshlrev_b32_e32 v19, 3, v19
	s_clause 0x1
	global_load_b128 v[23:26], v19, s[8:9] offset:2032
	global_load_b128 v[28:31], v19, s[8:9] offset:2016
	v_add_co_u32 v32, vcc_lo, s8, v32
	s_wait_alu 0xfffd
	v_add_co_ci_u32_e32 v33, vcc_lo, s9, v33, vcc_lo
	s_clause 0x3
	global_load_b128 v[36:39], v[32:33], off offset:2000
	global_load_b128 v[40:43], v[32:33], off offset:2032
	;; [unrolled: 1-line block ×3, first 2 shown]
	global_load_b128 v[48:51], v19, s[8:9] offset:2000
	v_mul_lo_u32 v19, s3, v3
	v_mul_lo_u32 v32, s2, v4
	v_mad_co_u64_u32 v[3:4], null, s2, v3, 0
	ds_load_b32 v79, v21
	ds_load_b32 v80, v22
	;; [unrolled: 1-line block ×3, first 2 shown]
	v_mul_hi_u32 v13, 0x20820821, v53
	v_add_nc_u32_e32 v33, 0x5e0, v0
	ds_load_b32 v82, v27
	ds_load_b32 v83, v0 offset:6552
	ds_load_b32 v84, v0
	v_lshlrev_b64_e32 v[0:1], 3, v[1:2]
	v_add3_u32 v4, v4, v32, v19
	v_lshrrev_b32_e32 v13, 3, v13
	s_delay_alu instid0(VALU_DEP_2) | instskip(NEXT) | instid1(VALU_DEP_2)
	v_lshlrev_b64_e32 v[2:3], 3, v[3:4]
	v_mul_lo_u32 v4, 0xfc, v13
	s_delay_alu instid0(VALU_DEP_2) | instskip(SKIP_1) | instid1(VALU_DEP_3)
	v_add_co_u32 v2, vcc_lo, s6, v2
	s_wait_alu 0xfffd
	v_add_co_ci_u32_e32 v3, vcc_lo, s7, v3, vcc_lo
	s_delay_alu instid0(VALU_DEP_3) | instskip(NEXT) | instid1(VALU_DEP_3)
	v_sub_nc_u32_e32 v27, v35, v4
	v_add_co_u32 v85, vcc_lo, v2, v0
	s_wait_alu 0xfffd
	s_delay_alu instid0(VALU_DEP_3) | instskip(NEXT) | instid1(VALU_DEP_3)
	v_add_co_ci_u32_e32 v86, vcc_lo, v3, v1, vcc_lo
	v_add_nc_u32_e32 v72, 0x4ec, v27
	v_add_nc_u32_e32 v67, 0xfc, v27
	v_mad_co_u64_u32 v[0:1], null, s16, v27, 0
	v_add_nc_u32_e32 v73, 0x5e8, v27
	s_delay_alu instid0(VALU_DEP_4) | instskip(SKIP_2) | instid1(VALU_DEP_4)
	v_mad_co_u64_u32 v[60:61], null, s16, v72, 0
	v_add_nc_u32_e32 v56, 0x7e, v35
	v_mad_co_u64_u32 v[3:4], null, s16, v67, 0
	v_mad_co_u64_u32 v[62:63], null, s16, v73, 0
	s_delay_alu instid0(VALU_DEP_3) | instskip(SKIP_2) | instid1(VALU_DEP_3)
	v_lshrrev_b32_e32 v21, 2, v56
	v_add_nc_u32_e32 v70, 0x2f4, v27
	v_add_nc_u32_e32 v71, 0x3f0, v27
	v_mul_hi_u32 v19, 0x20820821, v21
	ds_load_2addr_b32 v[21:22], v33 offset0:2 offset1:254
	ds_load_2addr_b32 v[32:33], v34 offset0:110 offset1:236
	v_mad_co_u64_u32 v[58:59], null, s16, v71, 0
	v_lshrrev_b32_e32 v13, 3, v19
	s_delay_alu instid0(VALU_DEP_1) | instskip(NEXT) | instid1(VALU_DEP_1)
	v_mul_lo_u32 v19, 0xfc, v13
	v_sub_nc_u32_e32 v2, v56, v19
	s_delay_alu instid0(VALU_DEP_4) | instskip(SKIP_4) | instid1(VALU_DEP_3)
	v_mov_b32_e32 v19, v59
	ds_load_2addr_b32 v[54:55], v54 offset0:106 offset1:232
	v_mad_co_u64_u32 v[64:65], null, 0x6e4, v13, v[2:3]
	v_mad_co_u64_u32 v[1:2], null, s17, v27, v[1:2]
	v_mov_b32_e32 v2, v4
	v_mad_co_u64_u32 v[65:66], null, s16, v64, 0
	s_delay_alu instid0(VALU_DEP_2)
	v_mad_co_u64_u32 v[67:68], null, s17, v67, v[2:3]
	v_add_nc_u32_e32 v69, 0x1f8, v27
	v_mov_b32_e32 v27, v61
	v_add_nc_u32_e32 v87, 0xfc, v64
	v_lshlrev_b64_e32 v[0:1], 3, v[0:1]
	v_mov_b32_e32 v2, v66
	v_mad_co_u64_u32 v[34:35], null, s16, v69, 0
	v_add_nc_u32_e32 v89, 0x2f4, v64
	s_delay_alu instid0(VALU_DEP_4) | instskip(SKIP_2) | instid1(VALU_DEP_4)
	v_add_co_u32 v0, vcc_lo, v85, v0
	s_wait_alu 0xfffd
	v_add_co_ci_u32_e32 v1, vcc_lo, v86, v1, vcc_lo
	v_dual_mov_b32 v4, v35 :: v_dual_mov_b32 v35, v63
	v_mad_co_u64_u32 v[56:57], null, s16, v70, 0
	s_delay_alu instid0(VALU_DEP_2) | instskip(SKIP_2) | instid1(VALU_DEP_4)
	v_mad_co_u64_u32 v[68:69], null, s17, v69, v[4:5]
	v_mov_b32_e32 v4, v67
	v_mad_co_u64_u32 v[66:67], null, s17, v64, v[2:3]
	v_mov_b32_e32 v13, v57
	ds_load_2addr_b32 v[52:53], v52 offset0:114 offset1:240
	v_lshlrev_b64_e32 v[3:4], 3, v[3:4]
	v_mad_co_u64_u32 v[69:70], null, s17, v70, v[13:14]
	v_mad_co_u64_u32 v[70:71], null, s17, v71, v[19:20]
	v_add_nc_u32_e32 v88, 0x1f8, v64
	v_add_nc_u32_e32 v90, 0x3f0, v64
	v_lshlrev_b64_e32 v[65:66], 3, v[65:66]
	v_mov_b32_e32 v57, v69
	s_delay_alu instid0(VALU_DEP_4) | instskip(SKIP_1) | instid1(VALU_DEP_3)
	v_mad_co_u64_u32 v[75:76], null, s16, v88, 0
	v_mov_b32_e32 v59, v70
	v_lshlrev_b64_e32 v[56:57], 3, v[56:57]
	s_delay_alu instid0(VALU_DEP_2)
	v_lshlrev_b64_e32 v[58:59], 3, v[58:59]
	s_wait_loadcnt 0x4
	v_mad_co_u64_u32 v[71:72], null, s17, v72, v[27:28]
	s_wait_dscnt 0x7
	v_mul_f32_e32 v19, v81, v29
	s_wait_dscnt 0x2
	v_mul_f32_e32 v27, v33, v24
	v_mul_f32_e32 v29, v20, v29
	s_wait_loadcnt 0x3
	v_mad_co_u64_u32 v[72:73], null, s17, v73, v[35:36]
	v_mad_co_u64_u32 v[73:74], null, s16, v87, 0
	v_mov_b32_e32 v35, v68
	v_dual_mov_b32 v61, v71 :: v_dual_mul_f32 v24, v12, v24
	s_wait_dscnt 0x0
	v_mul_f32_e32 v13, v53, v31
	v_mul_f32_e32 v31, v6, v31
	v_lshlrev_b64_e32 v[34:35], 3, v[34:35]
	v_mov_b32_e32 v2, v74
	v_fmac_f32_e32 v24, v23, v33
	v_fma_f32 v6, v6, v30, -v13
	v_fmac_f32_e32 v31, v30, v53
	v_mul_f32_e32 v30, v9, v37
	v_mad_co_u64_u32 v[67:68], null, s17, v87, v[2:3]
	v_add_co_u32 v2, vcc_lo, v85, v3
	s_wait_alu 0xfffd
	v_add_co_ci_u32_e32 v3, vcc_lo, v86, v4, vcc_lo
	v_mul_f32_e32 v4, v55, v26
	v_mul_f32_e32 v26, v8, v26
	v_mov_b32_e32 v63, v72
	v_mul_f32_e32 v13, v21, v37
	v_fmac_f32_e32 v30, v36, v21
	v_fma_f32 v4, v8, v25, -v4
	v_fma_f32 v8, v20, v28, -v19
	s_wait_loadcnt 0x2
	v_mul_f32_e32 v19, v83, v43
	s_wait_loadcnt 0x1
	v_mul_f32_e32 v20, v32, v47
	v_fmac_f32_e32 v26, v25, v55
	v_mul_f32_e32 v37, v11, v47
	v_add_co_u32 v34, vcc_lo, v85, v34
	s_delay_alu instid0(VALU_DEP_4)
	v_fma_f32 v11, v11, v46, -v20
	s_wait_loadcnt 0x0
	v_dual_mul_f32 v20, v82, v51 :: v_dual_fmac_f32 v29, v28, v81
	v_mul_f32_e32 v25, v22, v39
	v_mul_f32_e32 v28, v18, v43
	v_fma_f32 v12, v12, v23, -v27
	v_mul_f32_e32 v27, v54, v41
	v_fma_f32 v18, v18, v42, -v19
	v_mul_f32_e32 v19, v16, v51
	v_mul_f32_e32 v39, v10, v39
	v_fma_f32 v10, v10, v38, -v25
	v_dual_fmac_f32 v28, v42, v83 :: v_dual_mul_f32 v23, v52, v45
	v_fma_f32 v16, v16, v50, -v20
	v_mul_f32_e32 v41, v7, v41
	v_fma_f32 v7, v7, v40, -v27
	v_fmac_f32_e32 v19, v50, v82
	v_mul_f32_e32 v43, v80, v49
	v_mul_f32_e32 v33, v5, v45
	v_fma_f32 v9, v9, v36, -v13
	v_sub_f32_e32 v21, v10, v7
	v_fmac_f32_e32 v39, v38, v22
	v_fma_f32 v13, v17, v48, -v43
	v_add_f32_e32 v22, v30, v28
	v_fma_f32 v5, v5, v44, -v23
	s_wait_alu 0xfffd
	v_add_co_ci_u32_e32 v35, vcc_lo, v86, v35, vcc_lo
	v_sub_f32_e32 v27, v13, v4
	v_add_f32_e32 v4, v13, v4
	v_dual_sub_f32 v20, v11, v5 :: v_dual_fmac_f32 v37, v46, v32
	v_add_f32_e32 v7, v10, v7
	v_sub_f32_e32 v10, v30, v28
	v_fmac_f32_e32 v33, v44, v52
	v_sub_f32_e32 v28, v16, v12
	v_add_f32_e32 v32, v19, v24
	v_add_f32_e32 v12, v16, v12
	v_fmac_f32_e32 v41, v40, v54
	v_sub_f32_e32 v45, v6, v8
	v_add_f32_e32 v6, v6, v8
	v_add_f32_e32 v8, v31, v29
	;; [unrolled: 1-line block ×3, first 2 shown]
	v_sub_f32_e32 v29, v31, v29
	v_dual_mul_f32 v31, v17, v49 :: v_dual_sub_f32 v16, v19, v24
	v_sub_f32_e32 v17, v9, v18
	v_dual_add_f32 v9, v9, v18 :: v_dual_sub_f32 v24, v20, v21
	v_dual_add_f32 v5, v11, v5 :: v_dual_sub_f32 v46, v6, v12
	s_delay_alu instid0(VALU_DEP_3)
	v_dual_sub_f32 v19, v17, v20 :: v_dual_add_f32 v20, v20, v21
	v_add_f32_e32 v25, v39, v41
	v_dual_sub_f32 v18, v39, v41 :: v_dual_add_f32 v47, v4, v12
	v_sub_f32_e32 v12, v12, v4
	v_add_f32_e32 v38, v9, v7
	v_dual_sub_f32 v11, v37, v33 :: v_dual_mul_f32 v24, 0xbf08b237, v24
	v_dual_fmac_f32 v31, v48, v80 :: v_dual_mul_f32 v46, 0x3d64c772, v46
	v_lshlrev_b64_e32 v[60:61], 3, v[60:61]
	s_delay_alu instid0(VALU_DEP_3) | instskip(NEXT) | instid1(VALU_DEP_3)
	v_dual_sub_f32 v40, v11, v18 :: v_dual_sub_f32 v39, v10, v11
	v_add_f32_e32 v30, v31, v26
	v_sub_f32_e32 v13, v31, v26
	v_sub_f32_e32 v43, v8, v32
	v_add_co_u32 v56, vcc_lo, v85, v56
	s_delay_alu instid0(VALU_DEP_4)
	v_add_f32_e32 v44, v30, v32
	v_dual_sub_f32 v26, v22, v23 :: v_dual_sub_f32 v49, v29, v16
	v_sub_f32_e32 v31, v23, v25
	v_add_f32_e32 v33, v22, v25
	v_sub_f32_e32 v42, v30, v8
	v_add_f32_e32 v8, v8, v44
	v_sub_f32_e32 v48, v13, v29
	v_dual_sub_f32 v30, v32, v30 :: v_dual_sub_f32 v37, v5, v7
	v_mul_f32_e32 v49, 0xbf08b237, v49
	v_dual_add_f32 v29, v29, v16 :: v_dual_sub_f32 v16, v16, v13
	v_add_f32_e32 v11, v11, v18
	v_dual_sub_f32 v22, v25, v22 :: v_dual_add_f32 v23, v23, v33
	v_mul_f32_e32 v33, 0x3d64c772, v37
	v_add_f32_e32 v37, v5, v38
	v_add_f32_e32 v41, v45, v28
	v_mul_f32_e32 v38, 0xbf08b237, v40
	v_mul_f32_e32 v31, 0x3d64c772, v31
	v_dual_sub_f32 v25, v45, v28 :: v_dual_sub_f32 v28, v28, v27
	v_sub_f32_e32 v36, v9, v5
	v_sub_f32_e32 v7, v7, v9
	v_dual_sub_f32 v9, v18, v10 :: v_dual_sub_f32 v18, v27, v45
	v_dual_sub_f32 v45, v4, v6 :: v_dual_mul_f32 v50, 0x3f5ff5aa, v16
	v_dual_sub_f32 v21, v21, v17 :: v_dual_add_f32 v10, v10, v11
	v_mul_f32_e32 v32, 0x3f4a47b2, v36
	s_delay_alu instid0(VALU_DEP_3) | instskip(SKIP_1) | instid1(VALU_DEP_4)
	v_mul_f32_e32 v44, 0x3f4a47b2, v45
	v_fmamk_f32 v36, v36, 0x3f4a47b2, v33
	v_mul_f32_e32 v11, 0x3f5ff5aa, v21
	v_mul_f32_e32 v40, 0x3f5ff5aa, v9
	v_dual_fmamk_f32 v52, v39, 0x3eae86e6, v38 :: v_dual_add_f32 v17, v17, v20
	v_mul_f32_e32 v20, 0x3f4a47b2, v26
	v_fmamk_f32 v51, v19, 0x3eae86e6, v24
	v_fmamk_f32 v26, v26, 0x3f4a47b2, v31
	v_mul_f32_e32 v25, 0xbf08b237, v25
	v_add_f32_e32 v4, v15, v37
	v_fma_f32 v15, 0xbeae86e6, v19, -v11
	v_fma_f32 v11, 0xbf3bfb3b, v22, -v20
	;; [unrolled: 1-line block ×5, first 2 shown]
	v_add_f32_e32 v27, v27, v41
	v_fma_f32 v22, 0x3f3bfb3b, v22, -v31
	v_dual_fmamk_f32 v38, v48, 0x3eae86e6, v49 :: v_dual_add_f32 v13, v13, v29
	v_fmac_f32_e32 v20, 0x3ee1c552, v10
	v_mul_f32_e32 v29, 0x3f5ff5aa, v28
	v_fmac_f32_e32 v24, 0x3ee1c552, v10
	v_fmamk_f32 v31, v18, 0x3eae86e6, v25
	v_fma_f32 v25, 0x3f5ff5aa, v28, -v25
	v_fma_f32 v28, 0x3f5ff5aa, v16, -v49
	v_dual_add_f32 v5, v79, v23 :: v_dual_fmac_f32 v38, 0x3ee1c552, v13
	v_fma_f32 v18, 0xbeae86e6, v18, -v29
	v_fma_f32 v29, 0xbf3bfb3b, v12, -v44
	;; [unrolled: 1-line block ×3, first 2 shown]
	s_delay_alu instid0(VALU_DEP_4)
	v_dual_fmamk_f32 v16, v23, 0xbf955555, v5 :: v_dual_add_f32 v47, v6, v47
	v_fmamk_f32 v23, v37, 0xbf955555, v4
	v_fmac_f32_e32 v52, 0x3ee1c552, v10
	v_fma_f32 v19, 0xbf3bfb3b, v7, -v32
	v_fma_f32 v12, 0x3f3bfb3b, v12, -v46
	v_dual_add_f32 v6, v14, v47 :: v_dual_fmac_f32 v51, 0x3ee1c552, v17
	v_fmac_f32_e32 v18, 0x3ee1c552, v27
	s_delay_alu instid0(VALU_DEP_4)
	v_add_f32_e32 v19, v19, v23
	s_wait_alu 0xfffd
	v_add_co_ci_u32_e32 v57, vcc_lo, v86, v57, vcc_lo
	v_fmamk_f32 v10, v47, 0xbf955555, v6
	v_mul_f32_e32 v43, 0x3d64c772, v43
	v_fmac_f32_e32 v39, 0x3ee1c552, v13
	v_fmac_f32_e32 v28, 0x3ee1c552, v13
	;; [unrolled: 1-line block ×4, first 2 shown]
	v_add_f32_e32 v29, v29, v10
	v_dual_add_f32 v17, v26, v16 :: v_dual_add_f32 v26, v36, v23
	v_mul_f32_e32 v41, 0x3f4a47b2, v42
	v_fma_f32 v9, 0x3f3bfb3b, v7, -v33
	v_add_f32_e32 v7, v84, v8
	v_add_f32_e32 v13, v11, v16
	;; [unrolled: 1-line block ×3, first 2 shown]
	v_lshlrev_b64_e32 v[62:63], 3, v[62:63]
	v_add_f32_e32 v16, v9, v23
	v_fmamk_f32 v8, v8, 0xbf955555, v7
	global_store_b64 v[0:1], v[6:7], off
	v_sub_f32_e32 v0, v26, v52
	v_fma_f32 v14, 0xbf3bfb3b, v30, -v41
	v_fma_f32 v30, 0x3f3bfb3b, v30, -v43
	v_add_co_u32 v58, vcc_lo, v85, v58
	v_fmac_f32_e32 v25, 0x3ee1c552, v27
	s_wait_alu 0xfffd
	v_add_co_ci_u32_e32 v59, vcc_lo, v86, v59, vcc_lo
	v_dual_add_f32 v23, v30, v8 :: v_dual_add_f32 v30, v12, v10
	v_dual_fmamk_f32 v32, v42, 0x3f4a47b2, v43 :: v_dual_fmamk_f32 v33, v45, 0x3f4a47b2, v46
	v_add_co_u32 v60, vcc_lo, v85, v60
	s_wait_alu 0xfffd
	v_add_co_ci_u32_e32 v61, vcc_lo, v86, v61, vcc_lo
	s_delay_alu instid0(VALU_DEP_3)
	v_add_f32_e32 v22, v32, v8
	v_add_f32_e32 v32, v33, v10
	v_dual_sub_f32 v10, v16, v24 :: v_dual_fmac_f32 v31, 0x3ee1c552, v27
	v_add_f32_e32 v27, v14, v8
	v_add_co_u32 v62, vcc_lo, v85, v62
	v_sub_f32_e32 v6, v19, v20
	v_add_f32_e32 v8, v24, v16
	v_add_f32_e32 v12, v20, v19
	v_dual_add_f32 v14, v52, v26 :: v_dual_add_f32 v19, v18, v27
	v_add_f32_e32 v26, v38, v32
	v_add_f32_e32 v24, v39, v29
	v_dual_add_f32 v20, v28, v30 :: v_dual_sub_f32 v9, v11, v21
	v_add_f32_e32 v11, v21, v11
	v_sub_f32_e32 v21, v23, v25
	v_add_f32_e32 v23, v25, v23
	v_sub_f32_e32 v25, v27, v18
	v_sub_f32_e32 v27, v22, v31
	v_mad_co_u64_u32 v[77:78], null, s16, v89, 0
	s_wait_alu 0xfffd
	v_add_co_ci_u32_e32 v63, vcc_lo, v86, v63, vcc_lo
	v_add_f32_e32 v7, v15, v13
	v_dual_sub_f32 v13, v13, v15 :: v_dual_sub_f32 v16, v32, v38
	v_dual_sub_f32 v18, v29, v39 :: v_dual_add_f32 v1, v51, v17
	v_sub_f32_e32 v15, v17, v51
	v_dual_add_f32 v17, v31, v22 :: v_dual_sub_f32 v22, v30, v28
	v_add_co_u32 v65, vcc_lo, v85, v65
	s_wait_alu 0xfffd
	v_add_co_ci_u32_e32 v66, vcc_lo, v86, v66, vcc_lo
	s_clause 0x6
	global_store_b64 v[2:3], v[26:27], off
	global_store_b64 v[34:35], v[24:25], off
	;; [unrolled: 1-line block ×7, first 2 shown]
	v_mad_co_u64_u32 v[3:4], null, s16, v90, 0
	v_dual_mov_b32 v2, v76 :: v_dual_mov_b32 v5, v78
	v_mov_b32_e32 v74, v67
	v_add_nc_u32_e32 v24, 0x4ec, v64
	v_add_nc_u32_e32 v25, 0x5e8, v64
	s_delay_alu instid0(VALU_DEP_4)
	v_mad_co_u64_u32 v[18:19], null, s17, v88, v[2:3]
	v_mad_co_u64_u32 v[19:20], null, s17, v89, v[5:6]
	v_lshlrev_b64_e32 v[67:68], 3, v[73:74]
	v_mad_co_u64_u32 v[20:21], null, s16, v24, 0
	v_mov_b32_e32 v2, v4
	v_mad_co_u64_u32 v[22:23], null, s16, v25, 0
	v_mov_b32_e32 v78, v19
	v_add_co_u32 v16, vcc_lo, v85, v67
	s_wait_alu 0xfffd
	v_add_co_ci_u32_e32 v17, vcc_lo, v86, v68, vcc_lo
	v_mad_co_u64_u32 v[4:5], null, s17, v90, v[2:3]
	v_mov_b32_e32 v2, v21
	v_mov_b32_e32 v76, v18
	global_store_b64 v[16:17], v[14:15], off
	v_mad_co_u64_u32 v[16:17], null, s17, v24, v[2:3]
	v_mov_b32_e32 v2, v23
	v_lshlrev_b64_e32 v[14:15], 3, v[75:76]
	v_lshlrev_b64_e32 v[17:18], 3, v[77:78]
	s_delay_alu instid0(VALU_DEP_3) | instskip(SKIP_1) | instid1(VALU_DEP_4)
	v_mad_co_u64_u32 v[23:24], null, s17, v25, v[2:3]
	v_mov_b32_e32 v21, v16
	v_add_co_u32 v14, vcc_lo, v85, v14
	v_lshlrev_b64_e32 v[2:3], 3, v[3:4]
	s_wait_alu 0xfffd
	v_add_co_ci_u32_e32 v15, vcc_lo, v86, v15, vcc_lo
	v_add_co_u32 v4, vcc_lo, v85, v17
	v_lshlrev_b64_e32 v[16:17], 3, v[20:21]
	s_wait_alu 0xfffd
	v_add_co_ci_u32_e32 v5, vcc_lo, v86, v18, vcc_lo
	v_add_co_u32 v2, vcc_lo, v85, v2
	v_lshlrev_b64_e32 v[18:19], 3, v[22:23]
	s_wait_alu 0xfffd
	v_add_co_ci_u32_e32 v3, vcc_lo, v86, v3, vcc_lo
	v_add_co_u32 v16, vcc_lo, v85, v16
	s_wait_alu 0xfffd
	v_add_co_ci_u32_e32 v17, vcc_lo, v86, v17, vcc_lo
	v_add_co_u32 v18, vcc_lo, v85, v18
	s_wait_alu 0xfffd
	v_add_co_ci_u32_e32 v19, vcc_lo, v86, v19, vcc_lo
	s_clause 0x4
	global_store_b64 v[14:15], v[12:13], off
	global_store_b64 v[4:5], v[10:11], off
	;; [unrolled: 1-line block ×5, first 2 shown]
.LBB0_31:
	s_nop 0
	s_sendmsg sendmsg(MSG_DEALLOC_VGPRS)
	s_endpgm
	.section	.rodata,"a",@progbits
	.p2align	6, 0x0
	.amdhsa_kernel fft_rtc_fwd_len1764_factors_2_2_3_3_7_7_wgs_126_tpt_126_halfLds_sp_op_CI_CI_sbrr_dirReg
		.amdhsa_group_segment_fixed_size 0
		.amdhsa_private_segment_fixed_size 0
		.amdhsa_kernarg_size 104
		.amdhsa_user_sgpr_count 2
		.amdhsa_user_sgpr_dispatch_ptr 0
		.amdhsa_user_sgpr_queue_ptr 0
		.amdhsa_user_sgpr_kernarg_segment_ptr 1
		.amdhsa_user_sgpr_dispatch_id 0
		.amdhsa_user_sgpr_private_segment_size 0
		.amdhsa_wavefront_size32 1
		.amdhsa_uses_dynamic_stack 0
		.amdhsa_enable_private_segment 0
		.amdhsa_system_sgpr_workgroup_id_x 1
		.amdhsa_system_sgpr_workgroup_id_y 0
		.amdhsa_system_sgpr_workgroup_id_z 0
		.amdhsa_system_sgpr_workgroup_info 0
		.amdhsa_system_vgpr_workitem_id 0
		.amdhsa_next_free_vgpr 91
		.amdhsa_next_free_sgpr 43
		.amdhsa_reserve_vcc 1
		.amdhsa_float_round_mode_32 0
		.amdhsa_float_round_mode_16_64 0
		.amdhsa_float_denorm_mode_32 3
		.amdhsa_float_denorm_mode_16_64 3
		.amdhsa_fp16_overflow 0
		.amdhsa_workgroup_processor_mode 1
		.amdhsa_memory_ordered 1
		.amdhsa_forward_progress 0
		.amdhsa_round_robin_scheduling 0
		.amdhsa_exception_fp_ieee_invalid_op 0
		.amdhsa_exception_fp_denorm_src 0
		.amdhsa_exception_fp_ieee_div_zero 0
		.amdhsa_exception_fp_ieee_overflow 0
		.amdhsa_exception_fp_ieee_underflow 0
		.amdhsa_exception_fp_ieee_inexact 0
		.amdhsa_exception_int_div_zero 0
	.end_amdhsa_kernel
	.text
.Lfunc_end0:
	.size	fft_rtc_fwd_len1764_factors_2_2_3_3_7_7_wgs_126_tpt_126_halfLds_sp_op_CI_CI_sbrr_dirReg, .Lfunc_end0-fft_rtc_fwd_len1764_factors_2_2_3_3_7_7_wgs_126_tpt_126_halfLds_sp_op_CI_CI_sbrr_dirReg
                                        ; -- End function
	.section	.AMDGPU.csdata,"",@progbits
; Kernel info:
; codeLenInByte = 11844
; NumSgprs: 45
; NumVgprs: 91
; ScratchSize: 0
; MemoryBound: 0
; FloatMode: 240
; IeeeMode: 1
; LDSByteSize: 0 bytes/workgroup (compile time only)
; SGPRBlocks: 5
; VGPRBlocks: 11
; NumSGPRsForWavesPerEU: 45
; NumVGPRsForWavesPerEU: 91
; Occupancy: 16
; WaveLimiterHint : 1
; COMPUTE_PGM_RSRC2:SCRATCH_EN: 0
; COMPUTE_PGM_RSRC2:USER_SGPR: 2
; COMPUTE_PGM_RSRC2:TRAP_HANDLER: 0
; COMPUTE_PGM_RSRC2:TGID_X_EN: 1
; COMPUTE_PGM_RSRC2:TGID_Y_EN: 0
; COMPUTE_PGM_RSRC2:TGID_Z_EN: 0
; COMPUTE_PGM_RSRC2:TIDIG_COMP_CNT: 0
	.text
	.p2alignl 7, 3214868480
	.fill 96, 4, 3214868480
	.type	__hip_cuid_c26b5f8ea612d2b6,@object ; @__hip_cuid_c26b5f8ea612d2b6
	.section	.bss,"aw",@nobits
	.globl	__hip_cuid_c26b5f8ea612d2b6
__hip_cuid_c26b5f8ea612d2b6:
	.byte	0                               ; 0x0
	.size	__hip_cuid_c26b5f8ea612d2b6, 1

	.ident	"AMD clang version 19.0.0git (https://github.com/RadeonOpenCompute/llvm-project roc-6.4.0 25133 c7fe45cf4b819c5991fe208aaa96edf142730f1d)"
	.section	".note.GNU-stack","",@progbits
	.addrsig
	.addrsig_sym __hip_cuid_c26b5f8ea612d2b6
	.amdgpu_metadata
---
amdhsa.kernels:
  - .args:
      - .actual_access:  read_only
        .address_space:  global
        .offset:         0
        .size:           8
        .value_kind:     global_buffer
      - .offset:         8
        .size:           8
        .value_kind:     by_value
      - .actual_access:  read_only
        .address_space:  global
        .offset:         16
        .size:           8
        .value_kind:     global_buffer
      - .actual_access:  read_only
        .address_space:  global
        .offset:         24
        .size:           8
        .value_kind:     global_buffer
      - .actual_access:  read_only
        .address_space:  global
        .offset:         32
        .size:           8
        .value_kind:     global_buffer
      - .offset:         40
        .size:           8
        .value_kind:     by_value
      - .actual_access:  read_only
        .address_space:  global
        .offset:         48
        .size:           8
        .value_kind:     global_buffer
      - .actual_access:  read_only
        .address_space:  global
        .offset:         56
        .size:           8
        .value_kind:     global_buffer
      - .offset:         64
        .size:           4
        .value_kind:     by_value
      - .actual_access:  read_only
        .address_space:  global
        .offset:         72
        .size:           8
        .value_kind:     global_buffer
      - .actual_access:  read_only
        .address_space:  global
        .offset:         80
        .size:           8
        .value_kind:     global_buffer
      - .actual_access:  read_only
        .address_space:  global
        .offset:         88
        .size:           8
        .value_kind:     global_buffer
      - .actual_access:  write_only
        .address_space:  global
        .offset:         96
        .size:           8
        .value_kind:     global_buffer
    .group_segment_fixed_size: 0
    .kernarg_segment_align: 8
    .kernarg_segment_size: 104
    .language:       OpenCL C
    .language_version:
      - 2
      - 0
    .max_flat_workgroup_size: 126
    .name:           fft_rtc_fwd_len1764_factors_2_2_3_3_7_7_wgs_126_tpt_126_halfLds_sp_op_CI_CI_sbrr_dirReg
    .private_segment_fixed_size: 0
    .sgpr_count:     45
    .sgpr_spill_count: 0
    .symbol:         fft_rtc_fwd_len1764_factors_2_2_3_3_7_7_wgs_126_tpt_126_halfLds_sp_op_CI_CI_sbrr_dirReg.kd
    .uniform_work_group_size: 1
    .uses_dynamic_stack: false
    .vgpr_count:     91
    .vgpr_spill_count: 0
    .wavefront_size: 32
    .workgroup_processor_mode: 1
amdhsa.target:   amdgcn-amd-amdhsa--gfx1201
amdhsa.version:
  - 1
  - 2
...

	.end_amdgpu_metadata
